;; amdgpu-corpus repo=ROCm/aiter kind=harvested arch=n/a opt=n/a

/root/src/amdgpu-assembly/repos/ROCm__aiter/hsa/gfx950/fmoe_2stages/fmoe_stage1_bf16_pertokenFp8_g1u1_80x256_pf2.co:	file format elf64-amdgpu

Disassembly of section .text:

0000000000002a00 <_ZN5aiter44fmoe_stage1_bf16_pertokenFp8_g1u1_80x256_pf2E>:
	s_and_b32 s1, s1, 0xffff                                   // 000000002A00: 8601FF01 0000FFFF
	s_load_dwordx2 s[8:9], s[0:1], 0x0                         // 000000002A08: C0060200 00000000
	s_load_dwordx2 s[20:21], s[0:1], 0x10                      // 000000002A10: C0060500 00000010
	s_load_dwordx2 s[24:25], s[0:1], 0x20                      // 000000002A18: C0060600 00000020
	s_load_dwordx2 s[48:49], s[0:1], 0x30                      // 000000002A20: C0060C00 00000030
	s_load_dwordx2 s[28:29], s[0:1], 0x40                      // 000000002A28: C0060700 00000040
	s_load_dwordx2 s[32:33], s[0:1], 0x50                      // 000000002A30: C0060800 00000050
	s_load_dwordx2 s[36:37], s[0:1], 0x60                      // 000000002A38: C0060900 00000060
	s_load_dwordx2 s[12:13], s[0:1], 0x70                      // 000000002A40: C0060300 00000070
	s_load_dwordx2 s[44:45], s[0:1], 0x80                      // 000000002A48: C0060B00 00000080
	s_mov_b32 s89, 0                                           // 000000002A50: BED90080
	s_load_dword s64, s[0:1], 0x90                             // 000000002A54: C0021000 00000090
	s_load_dword s65, s[0:1], 0xa0                             // 000000002A5C: C0021040 000000A0
	s_load_dword s66, s[0:1], 0xb0                             // 000000002A64: C0021080 000000B0
	s_load_dword s67, s[0:1], 0xc0                             // 000000002A6C: C00210C0 000000C0
	s_load_dword s68, s[0:1], 0xd0                             // 000000002A74: C0021100 000000D0
	s_load_dword s69, s[0:1], 0xe0                             // 000000002A7C: C0021140 000000E0
	s_load_dword s71, s[0:1], 0xf0                             // 000000002A84: C00211C0 000000F0
	s_load_dword s72, s[0:1], 0x100                            // 000000002A8C: C0021200 00000100
	s_load_dword s74, s[0:1], 0x110                            // 000000002A94: C0021280 00000110
	s_load_dword s76, s[0:1], 0x120                            // 000000002A9C: C0021300 00000120
	s_load_dword s56, s[0:1], 0x130                            // 000000002AA4: C0020E00 00000130
	s_load_dword s88, s[0:1], 0x140                            // 000000002AAC: C0021600 00000140
	s_load_dword s89, s[0:1], 0x150                            // 000000002AB4: C0021640 00000150
	v_lshrrev_b32_e32 v1, 10, v0                               // 000000002ABC: 2002008A
	v_lshrrev_b32_e32 v2, 10, v1                               // 000000002AC0: 2004028A
	v_and_b32_e32 v2, 0x3ff, v2                                // 000000002AC4: 260404FF 000003FF
	v_and_b32_e32 v1, 0x3ff, v1                                // 000000002ACC: 260202FF 000003FF
	v_and_b32_e32 v0, 0x3ff, v0                                // 000000002AD4: 260000FF 000003FF
	v_lshrrev_b32_e32 v3, 6, v0                                // 000000002ADC: 20060086
	v_and_b32_e32 v0, 63, v0                                   // 000000002AE0: 260000BF
	s_mov_b32 s2, s2                                           // 000000002AE4: BE820002
	s_mov_b32 s3, s3                                           // 000000002AE8: BE830003
	s_mov_b32 s4, s4                                           // 000000002AEC: BE840004
	v_readfirstlane_b32 s7, v3                                 // 000000002AF0: 7E0E0503
	s_waitcnt lgkmcnt(0)                                       // 000000002AF4: BF8CC07F
	s_and_b32 s49, s49, 0xffff                                 // 000000002AF8: 8631FF31 0000FFFF
	s_load_dword s48, s[48:49], 0x0                            // 000000002B00: C0020C18 00000000
	s_and_b32 s45, s45, 0xffff                                 // 000000002B08: 862DFF2D 0000FFFF
	s_and_b32 s9, s9, 0xffff                                   // 000000002B10: 8609FF09 0000FFFF
	s_mul_i32 s60, s66, s68                                    // 000000002B18: 923C4442
	s_mul_i32 s61, s66, 4                                      // 000000002B1C: 923D8442
	s_mov_b32 s22, s60                                         // 000000002B20: BE96003C
	s_mov_b32 s26, -16                                         // 000000002B24: BE9A00D0
	s_mov_b32 s30, s61                                         // 000000002B28: BE9E003D
	s_mov_b32 s14, 0x140                                       // 000000002B2C: BE8E00FF 00000140
	s_mov_b32 s38, -16                                         // 000000002B34: BEA600D0
	s_mov_b32 s10, -16                                         // 000000002B38: BE8A00D0
	s_mov_b32 s34, 0x400                                       // 000000002B3C: BEA200FF 00000400
	s_mov_b32 s23, 0x20000                                     // 000000002B44: BE9700FF 00020000
	s_mov_b32 s27, 0x20000                                     // 000000002B4C: BE9B00FF 00020000
	s_mov_b32 s31, 0x20000                                     // 000000002B54: BE9F00FF 00020000
	s_mov_b32 s35, 0x20000                                     // 000000002B5C: BEA300FF 00020000
	s_mov_b32 s15, 0x20000                                     // 000000002B64: BE8F00FF 00020000
	s_mov_b32 s39, 0x20000                                     // 000000002B6C: BEA700FF 00020000
	s_mov_b32 s11, 0x20000                                     // 000000002B74: BE8B00FF 00020000
	s_and_b32 s21, s21, 0xffff                                 // 000000002B7C: 8615FF15 0000FFFF
	s_and_b32 s25, s25, 0xffff                                 // 000000002B84: 8619FF19 0000FFFF
	s_and_b32 s29, s29, 0xffff                                 // 000000002B8C: 861DFF1D 0000FFFF
	s_and_b32 s33, s33, 0xffff                                 // 000000002B94: 8621FF21 0000FFFF
	s_and_b32 s13, s13, 0xffff                                 // 000000002B9C: 860DFF0D 0000FFFF
	s_and_b32 s37, s37, 0xffff                                 // 000000002BA4: 8625FF25 0000FFFF
	s_or_b32 s21, s21, 0x40000                                 // 000000002BAC: 8715FF15 00040000
	s_or_b32 s25, s25, 0x40000                                 // 000000002BB4: 8719FF19 00040000
	s_or_b32 s29, s29, 0x40000                                 // 000000002BBC: 871DFF1D 00040000
	s_or_b32 s33, s33, 0x40000                                 // 000000002BC4: 8721FF21 00040000
	s_or_b32 s13, s13, 0x40000                                 // 000000002BCC: 870DFF0D 00040000
	s_or_b32 s37, s37, 0x40000                                 // 000000002BD4: 8725FF25 00040000
	v_accvgpr_write_b32 a143, 0                                // 000000002BDC: D3D9408F 18000080
	v_mov_b32_e32 v223, 0                                      // 000000002BE4: 7FBE0280
	s_waitcnt lgkmcnt(0)                                       // 000000002BE8: BF8CC07F
	s_mul_i32 s60, s3, 0x50                                    // 000000002BEC: 923CFF03 00000050
	s_cmp_lt_i32 s60, s48                                      // 000000002BF4: BF04303C
	s_cbranch_scc0 label_2F70                                  // 000000002BF8: BF842EEE
	s_mov_b32 s80, 0                                           // 000000002BFC: BED00080
	s_lshr_b32 s81, s64, s88                                   // 000000002C00: 8F515840
	s_mul_i32 s60, s3, 4                                       // 000000002C04: 923C8403
	s_add_u32 s44, s60, s44                                    // 000000002C08: 802C2C3C
	s_addc_u32 s45, 0, s45                                     // 000000002C0C: 822D2D80
	s_load_dword s5, s[44:45], 0x0                             // 000000002C10: C0020156 00000000
	s_mul_i32 s60, s3, 0x50                                    // 000000002C18: 923CFF03 00000050
	s_mul_i32 s60, 4, s60                                      // 000000002C20: 923C3C84
	s_add_u32 s12, s60, s12                                    // 000000002C24: 800C0C3C
	s_addc_u32 s13, 0, s13                                     // 000000002C28: 820D0D80
	v_and_b32_e32 v4, 15, v0                                   // 000000002C2C: 2608008F
	v_lshlrev_b32_e32 v4, 2, v4                                // 000000002C30: 24080882
	buffer_load_dword v28, v4, s[12:15], 0 offen               // 000000002C34: E0501000 80031C04
	v_add_u32_e32 v4, 64, v4                                   // 000000002C3C: 680808C0
	buffer_load_dword v29, v4, s[12:15], 0 offen               // 000000002C40: E0501000 80031D04
	v_add_u32_e32 v4, 64, v4                                   // 000000002C48: 680808C0
	buffer_load_dword v30, v4, s[12:15], 0 offen               // 000000002C4C: E0501000 80031E04
	v_add_u32_e32 v4, 64, v4                                   // 000000002C54: 680808C0
	buffer_load_dword v31, v4, s[12:15], 0 offen               // 000000002C58: E0501000 80031F04
	v_add_u32_e32 v4, 64, v4                                   // 000000002C60: 680808C0
	buffer_load_dword v32, v4, s[12:15], 0 offen               // 000000002C64: E0501000 80032004
	v_add_u32_e32 v4, 64, v4                                   // 000000002C6C: 680808C0
	s_mul_i32 s60, 4, s7                                       // 000000002C70: 923C0784
	v_lshlrev_b32_e32 v4, 4, v0                                // 000000002C74: 24080084
	v_add_u32_e32 v4, s60, v4                                  // 000000002C78: 6808083C
	buffer_load_dword v3, v4, s[12:15], 0 offen                // 000000002C7C: E0501000 80030304
	v_mov_b32_e32 v64, 0                                       // 000000002C84: 7E800280
	v_mov_b32_e32 v144, 0                                      // 000000002C88: 7F200280
	v_mov_b32_e32 v65, 0                                       // 000000002C8C: 7E820280
	v_mov_b32_e32 v145, 0                                      // 000000002C90: 7F220280
	v_mov_b32_e32 v66, 0                                       // 000000002C94: 7E840280
	v_mov_b32_e32 v146, 0                                      // 000000002C98: 7F240280
	v_mov_b32_e32 v67, 0                                       // 000000002C9C: 7E860280
	v_mov_b32_e32 v147, 0                                      // 000000002CA0: 7F260280
	v_mov_b32_e32 v68, 0                                       // 000000002CA4: 7E880280
	v_mov_b32_e32 v148, 0                                      // 000000002CA8: 7F280280
	v_mov_b32_e32 v69, 0                                       // 000000002CAC: 7E8A0280
	v_mov_b32_e32 v149, 0                                      // 000000002CB0: 7F2A0280
	v_mov_b32_e32 v70, 0                                       // 000000002CB4: 7E8C0280
	v_mov_b32_e32 v150, 0                                      // 000000002CB8: 7F2C0280
	v_mov_b32_e32 v71, 0                                       // 000000002CBC: 7E8E0280
	v_mov_b32_e32 v151, 0                                      // 000000002CC0: 7F2E0280
	v_mov_b32_e32 v72, 0                                       // 000000002CC4: 7E900280
	v_mov_b32_e32 v152, 0                                      // 000000002CC8: 7F300280
	v_mov_b32_e32 v73, 0                                       // 000000002CCC: 7E920280
	v_mov_b32_e32 v153, 0                                      // 000000002CD0: 7F320280
	v_mov_b32_e32 v74, 0                                       // 000000002CD4: 7E940280
	v_mov_b32_e32 v154, 0                                      // 000000002CD8: 7F340280
	v_mov_b32_e32 v75, 0                                       // 000000002CDC: 7E960280
	v_mov_b32_e32 v155, 0                                      // 000000002CE0: 7F360280
	v_mov_b32_e32 v76, 0                                       // 000000002CE4: 7E980280
	v_mov_b32_e32 v156, 0                                      // 000000002CE8: 7F380280
	v_mov_b32_e32 v77, 0                                       // 000000002CEC: 7E9A0280
	v_mov_b32_e32 v157, 0                                      // 000000002CF0: 7F3A0280
	v_mov_b32_e32 v78, 0                                       // 000000002CF4: 7E9C0280
	v_mov_b32_e32 v158, 0                                      // 000000002CF8: 7F3C0280
	v_mov_b32_e32 v79, 0                                       // 000000002CFC: 7E9E0280
	v_mov_b32_e32 v159, 0                                      // 000000002D00: 7F3E0280
	v_mov_b32_e32 v80, 0                                       // 000000002D04: 7EA00280
	v_mov_b32_e32 v160, 0                                      // 000000002D08: 7F400280
	v_mov_b32_e32 v81, 0                                       // 000000002D0C: 7EA20280
	v_mov_b32_e32 v161, 0                                      // 000000002D10: 7F420280
	v_mov_b32_e32 v82, 0                                       // 000000002D14: 7EA40280
	v_mov_b32_e32 v162, 0                                      // 000000002D18: 7F440280
	v_mov_b32_e32 v83, 0                                       // 000000002D1C: 7EA60280
	v_mov_b32_e32 v163, 0                                      // 000000002D20: 7F460280
	v_mov_b32_e32 v84, 0                                       // 000000002D24: 7EA80280
	v_mov_b32_e32 v164, 0                                      // 000000002D28: 7F480280
	v_mov_b32_e32 v85, 0                                       // 000000002D2C: 7EAA0280
	v_mov_b32_e32 v165, 0                                      // 000000002D30: 7F4A0280
	v_mov_b32_e32 v86, 0                                       // 000000002D34: 7EAC0280
	v_mov_b32_e32 v166, 0                                      // 000000002D38: 7F4C0280
	v_mov_b32_e32 v87, 0                                       // 000000002D3C: 7EAE0280
	v_mov_b32_e32 v167, 0                                      // 000000002D40: 7F4E0280
	v_mov_b32_e32 v88, 0                                       // 000000002D44: 7EB00280
	v_mov_b32_e32 v168, 0                                      // 000000002D48: 7F500280
	v_mov_b32_e32 v89, 0                                       // 000000002D4C: 7EB20280
	v_mov_b32_e32 v169, 0                                      // 000000002D50: 7F520280
	v_mov_b32_e32 v90, 0                                       // 000000002D54: 7EB40280
	v_mov_b32_e32 v170, 0                                      // 000000002D58: 7F540280
	v_mov_b32_e32 v91, 0                                       // 000000002D5C: 7EB60280
	v_mov_b32_e32 v171, 0                                      // 000000002D60: 7F560280
	v_mov_b32_e32 v92, 0                                       // 000000002D64: 7EB80280
	v_mov_b32_e32 v172, 0                                      // 000000002D68: 7F580280
	v_mov_b32_e32 v93, 0                                       // 000000002D6C: 7EBA0280
	v_mov_b32_e32 v173, 0                                      // 000000002D70: 7F5A0280
	v_mov_b32_e32 v94, 0                                       // 000000002D74: 7EBC0280
	v_mov_b32_e32 v174, 0                                      // 000000002D78: 7F5C0280
	v_mov_b32_e32 v95, 0                                       // 000000002D7C: 7EBE0280
	v_mov_b32_e32 v175, 0                                      // 000000002D80: 7F5E0280
	v_mov_b32_e32 v96, 0                                       // 000000002D84: 7EC00280
	v_mov_b32_e32 v176, 0                                      // 000000002D88: 7F600280
	v_mov_b32_e32 v97, 0                                       // 000000002D8C: 7EC20280
	v_mov_b32_e32 v177, 0                                      // 000000002D90: 7F620280
	v_mov_b32_e32 v98, 0                                       // 000000002D94: 7EC40280
	v_mov_b32_e32 v178, 0                                      // 000000002D98: 7F640280
	v_mov_b32_e32 v99, 0                                       // 000000002D9C: 7EC60280
	v_mov_b32_e32 v179, 0                                      // 000000002DA0: 7F660280
	v_mov_b32_e32 v100, 0                                      // 000000002DA4: 7EC80280
	v_mov_b32_e32 v180, 0                                      // 000000002DA8: 7F680280
	v_mov_b32_e32 v101, 0                                      // 000000002DAC: 7ECA0280
	v_mov_b32_e32 v181, 0                                      // 000000002DB0: 7F6A0280
	v_mov_b32_e32 v102, 0                                      // 000000002DB4: 7ECC0280
	v_mov_b32_e32 v182, 0                                      // 000000002DB8: 7F6C0280
	v_mov_b32_e32 v103, 0                                      // 000000002DBC: 7ECE0280
	v_mov_b32_e32 v183, 0                                      // 000000002DC0: 7F6E0280
	v_mov_b32_e32 v104, 0                                      // 000000002DC4: 7ED00280
	v_mov_b32_e32 v184, 0                                      // 000000002DC8: 7F700280
	v_mov_b32_e32 v105, 0                                      // 000000002DCC: 7ED20280
	v_mov_b32_e32 v185, 0                                      // 000000002DD0: 7F720280
	v_mov_b32_e32 v106, 0                                      // 000000002DD4: 7ED40280
	v_mov_b32_e32 v186, 0                                      // 000000002DD8: 7F740280
	v_mov_b32_e32 v107, 0                                      // 000000002DDC: 7ED60280
	v_mov_b32_e32 v187, 0                                      // 000000002DE0: 7F760280
	v_mov_b32_e32 v108, 0                                      // 000000002DE4: 7ED80280
	v_mov_b32_e32 v188, 0                                      // 000000002DE8: 7F780280
	v_mov_b32_e32 v109, 0                                      // 000000002DEC: 7EDA0280
	v_mov_b32_e32 v189, 0                                      // 000000002DF0: 7F7A0280
	v_mov_b32_e32 v110, 0                                      // 000000002DF4: 7EDC0280
	v_mov_b32_e32 v190, 0                                      // 000000002DF8: 7F7C0280
	v_mov_b32_e32 v111, 0                                      // 000000002DFC: 7EDE0280
	v_mov_b32_e32 v191, 0                                      // 000000002E00: 7F7E0280
	v_mov_b32_e32 v112, 0                                      // 000000002E04: 7EE00280
	v_mov_b32_e32 v192, 0                                      // 000000002E08: 7F800280
	v_mov_b32_e32 v113, 0                                      // 000000002E0C: 7EE20280
	v_mov_b32_e32 v193, 0                                      // 000000002E10: 7F820280
	v_mov_b32_e32 v114, 0                                      // 000000002E14: 7EE40280
	v_mov_b32_e32 v194, 0                                      // 000000002E18: 7F840280
	v_mov_b32_e32 v115, 0                                      // 000000002E1C: 7EE60280
	v_mov_b32_e32 v195, 0                                      // 000000002E20: 7F860280
	v_mov_b32_e32 v116, 0                                      // 000000002E24: 7EE80280
	v_mov_b32_e32 v196, 0                                      // 000000002E28: 7F880280
	v_mov_b32_e32 v117, 0                                      // 000000002E2C: 7EEA0280
	v_mov_b32_e32 v197, 0                                      // 000000002E30: 7F8A0280
	v_mov_b32_e32 v118, 0                                      // 000000002E34: 7EEC0280
	v_mov_b32_e32 v198, 0                                      // 000000002E38: 7F8C0280
	v_mov_b32_e32 v119, 0                                      // 000000002E3C: 7EEE0280
	v_mov_b32_e32 v199, 0                                      // 000000002E40: 7F8E0280
	v_mov_b32_e32 v120, 0                                      // 000000002E44: 7EF00280
	v_mov_b32_e32 v200, 0                                      // 000000002E48: 7F900280
	v_mov_b32_e32 v121, 0                                      // 000000002E4C: 7EF20280
	v_mov_b32_e32 v201, 0                                      // 000000002E50: 7F920280
	v_mov_b32_e32 v122, 0                                      // 000000002E54: 7EF40280
	v_mov_b32_e32 v202, 0                                      // 000000002E58: 7F940280
	v_mov_b32_e32 v123, 0                                      // 000000002E5C: 7EF60280
	v_mov_b32_e32 v203, 0                                      // 000000002E60: 7F960280
	v_mov_b32_e32 v124, 0                                      // 000000002E64: 7EF80280
	v_mov_b32_e32 v204, 0                                      // 000000002E68: 7F980280
	v_mov_b32_e32 v125, 0                                      // 000000002E6C: 7EFA0280
	v_mov_b32_e32 v205, 0                                      // 000000002E70: 7F9A0280
	v_mov_b32_e32 v126, 0                                      // 000000002E74: 7EFC0280
	v_mov_b32_e32 v206, 0                                      // 000000002E78: 7F9C0280
	v_mov_b32_e32 v127, 0                                      // 000000002E7C: 7EFE0280
	v_mov_b32_e32 v207, 0                                      // 000000002E80: 7F9E0280
	v_mov_b32_e32 v128, 0                                      // 000000002E84: 7F000280
	v_mov_b32_e32 v208, 0                                      // 000000002E88: 7FA00280
	v_mov_b32_e32 v129, 0                                      // 000000002E8C: 7F020280
	v_mov_b32_e32 v209, 0                                      // 000000002E90: 7FA20280
	v_mov_b32_e32 v130, 0                                      // 000000002E94: 7F040280
	v_mov_b32_e32 v210, 0                                      // 000000002E98: 7FA40280
	v_mov_b32_e32 v131, 0                                      // 000000002E9C: 7F060280
	v_mov_b32_e32 v211, 0                                      // 000000002EA0: 7FA60280
	v_mov_b32_e32 v132, 0                                      // 000000002EA4: 7F080280
	v_mov_b32_e32 v212, 0                                      // 000000002EA8: 7FA80280
	v_mov_b32_e32 v133, 0                                      // 000000002EAC: 7F0A0280
	v_mov_b32_e32 v213, 0                                      // 000000002EB0: 7FAA0280
	v_mov_b32_e32 v134, 0                                      // 000000002EB4: 7F0C0280
	v_mov_b32_e32 v214, 0                                      // 000000002EB8: 7FAC0280
	v_mov_b32_e32 v135, 0                                      // 000000002EBC: 7F0E0280
	v_mov_b32_e32 v215, 0                                      // 000000002EC0: 7FAE0280
	v_mov_b32_e32 v136, 0                                      // 000000002EC4: 7F100280
	v_mov_b32_e32 v216, 0                                      // 000000002EC8: 7FB00280
	v_mov_b32_e32 v137, 0                                      // 000000002ECC: 7F120280
	v_mov_b32_e32 v217, 0                                      // 000000002ED0: 7FB20280
	v_mov_b32_e32 v138, 0                                      // 000000002ED4: 7F140280
	v_mov_b32_e32 v218, 0                                      // 000000002ED8: 7FB40280
	v_mov_b32_e32 v139, 0                                      // 000000002EDC: 7F160280
	v_mov_b32_e32 v219, 0                                      // 000000002EE0: 7FB60280
	v_mov_b32_e32 v140, 0                                      // 000000002EE4: 7F180280
	v_mov_b32_e32 v220, 0                                      // 000000002EE8: 7FB80280
	v_mov_b32_e32 v141, 0                                      // 000000002EEC: 7F1A0280
	v_mov_b32_e32 v221, 0                                      // 000000002EF0: 7FBA0280
	v_mov_b32_e32 v142, 0                                      // 000000002EF4: 7F1C0280
	v_mov_b32_e32 v222, 0                                      // 000000002EF8: 7FBC0280
	v_mov_b32_e32 v143, 0                                      // 000000002EFC: 7F1E0280
	v_mov_b32_e32 v223, 0                                      // 000000002F00: 7FBE0280
	s_mul_i32 s60, s2, 0x200                                   // 000000002F04: 923CFF02 00000200
	s_cmp_eq_u32 s88, 0                                        // 000000002F0C: BF068058
	s_cselect_b32 s61, 1, 2                                    // 000000002F10: 853D8281
	s_mul_i32 s60, s60, s61                                    // 000000002F14: 923C3D3C
	s_mov_b32 s90, s8                                          // 000000002F18: BEDA0008
	s_mov_b32 s91, s9                                          // 000000002F1C: BEDB0009
	s_add_u32 s8, s60, s8                                      // 000000002F20: 8008083C
	s_addc_u32 s9, 0, s9                                       // 000000002F24: 82090980
	v_lshrrev_b32_e32 v4, 4, v0                                // 000000002F28: 20080084
	v_mul_lo_u32 v20, 34, v4                                   // 000000002F2C: D2850014 000208A2
	v_and_b32_e32 v4, 15, v0                                   // 000000002F34: 2608008F
	v_mul_lo_u32 v5, 2, v4                                     // 000000002F38: D2850005 00020882
	v_add_u32_e32 v20, v5, v20                                 // 000000002F40: 68282905
	s_mul_i32 s60, s7, 0x88                                    // 000000002F44: 923CFF07 00000088
	v_add_u32_e32 v20, s60, v20                                // 000000002F4C: 6828283C
	v_lshlrev_b32_e32 v20, 2, v20                              // 000000002F50: 24282882
	v_and_b32_e32 v4, 31, v0                                   // 000000002F54: 2608009F
	v_lshrrev_b32_e32 v4, 1, v4                                // 000000002F58: 20080881
	v_mul_lo_u32 v21, 34, v4                                   // 000000002F5C: D2850015 000208A2
	v_lshrrev_b32_e32 v4, 5, v0                                // 000000002F64: 20080085
	v_mul_lo_u32 v4, 8, v4                                     // 000000002F68: D2850004 00020888
	v_add_u32_e32 v21, v21, v4                                 // 000000002F70: 682A0915
	v_and_b32_e32 v5, 1, v0                                    // 000000002F74: 260A0081
	v_add_u32_e32 v21, v5, v21                                 // 000000002F78: 682A2B05
	s_mul_i32 s60, s7, 2                                       // 000000002F7C: 923C8207
	v_add_u32_e32 v21, s60, v21                                // 000000002F80: 682A2A3C
	v_lshlrev_b32_e32 v21, 2, v21                              // 000000002F84: 242A2A82
	s_mul_i32 s60, s7, 0xa20                                   // 000000002F88: 923CFF07 00000A20
	s_add_u32 s48, 0, s60                                      // 000000002F90: 80303C80
	s_add_u32 s49, 0x2880, s48                                 // 000000002F94: 803130FF 00002880
	v_lshrrev_b32_e32 v4, 4, v0                                // 000000002F9C: 20080084
	v_lshlrev_b32_e32 v5, 2, v4                                // 000000002FA0: 240A0882
	v_and_b32_e32 v4, 15, v0                                   // 000000002FA4: 2608008F
	v_lshrrev_b32_e32 v6, 2, v4                                // 000000002FA8: 200C0882
	v_lshlrev_b32_e32 v6, 5, v6                                // 000000002FAC: 240C0C85
	v_add_u32_e32 v5, v6, v5                                   // 000000002FB0: 680A0B06
	v_and_b32_e32 v4, 3, v0                                    // 000000002FB4: 26080083
	v_mul_u32_u24_e32 v6, 0x288, v4                            // 000000002FB8: 100C08FF 00000288
	v_add_u32_e32 v5, v6, v5                                   // 000000002FC0: 680A0B06
	v_lshlrev_b32_e32 v2, 2, v5                                // 000000002FC4: 24040A82
	s_waitcnt lgkmcnt(0)                                       // 000000002FC8: BF8CC07F
	s_mul_i32 s60, s2, 0x100                                   // 000000002FCC: 923CFF02 00000100
	s_mul_i32 s60, s60, s69                                    // 000000002FD4: 923C453C
	s_mul_i32 s61, s5, s72                                     // 000000002FD8: 923D4805
	s_add_u32 s60, s61, s60                                    // 000000002FDC: 803C3C3D
	s_add_u32 s24, s60, s24                                    // 000000002FE0: 8018183C
	s_addc_u32 s25, 0, s25                                     // 000000002FE4: 82191980
	s_lshr_b32 s60, s64, s88                                   // 000000002FE8: 8F3C5840
	s_mul_i32 s60, s4, s60                                     // 000000002FEC: 923C3C04
	s_lshr_b32 s60, s60, 7                                     // 000000002FF0: 8F3C873C
	s_mul_i32 s60, s60, 0x800                                  // 000000002FF4: 923CFF3C 00000800
	s_add_u32 s24, s60, s24                                    // 000000002FFC: 8018183C
	s_addc_u32 s25, 0, s25                                     // 000000003000: 82191980
	s_lshr_b32 s60, s69, s88                                   // 000000003004: 8F3C5845
	s_mul_i32 s60, s4, s60                                     // 000000003008: 923C3C04
	s_add_u32 s20, s60, s20                                    // 00000000300C: 8014143C
	s_addc_u32 s21, 0, s21                                     // 000000003010: 82151580
	s_mul_i32 s60, s7, 16                                      // 000000003014: 923C9007
	s_mul_i32 s60, s60, s69                                    // 000000003018: 923C453C
	v_lshlrev_b32_e32 v58, 4, v0                               // 00000000301C: 24740084
	v_add_u32_e32 v58, s60, v58                                // 000000003020: 6874743C
	s_mul_i32 s60, 64, s69                                     // 000000003024: 923C45C0
	v_add_u32_e32 v59, s60, v58                                // 000000003028: 6876743C
	v_add_u32_e32 v60, s60, v59                                // 00000000302C: 6878763C
	v_add_u32_e32 v61, s60, v60                                // 000000003030: 687A783C
	s_mov_b32 s84, s24                                         // 000000003034: BED40018
	s_mov_b32 s85, s25                                         // 000000003038: BED50019
	s_mov_b32 s86, s26                                         // 00000000303C: BED6001A
	s_mov_b32 s87, s27                                         // 000000003040: BED7001B
	s_mul_i32 s60, s69, s65                                    // 000000003044: 923C4145
	s_add_u32 s84, s60, s84                                    // 000000003048: 8054543C
	s_addc_u32 s85, 0, s85                                     // 00000000304C: 82555580
	v_lshrrev_b32_e32 v4, 4, v0                                // 000000003050: 20080084
	v_lshlrev_b32_e32 v5, 2, v4                                // 000000003054: 240A0882
	v_and_b32_e32 v4, 15, v0                                   // 000000003058: 2608008F
	v_lshrrev_b32_e32 v6, 2, v4                                // 00000000305C: 200C0882
	v_lshlrev_b32_e32 v6, 6, v6                                // 000000003060: 240C0C86
	v_add_u32_e32 v5, v6, v5                                   // 000000003064: 680A0B06
	v_and_b32_e32 v4, 3, v0                                    // 000000003068: 26080083
	v_add_u32_e32 v5, v4, v5                                   // 00000000306C: 680A0B04
	v_lshlrev_b32_e32 v22, 2, v5                               // 000000003070: 242C0A82
	s_mul_i32 s60, s7, 16                                      // 000000003074: 923C9007
	s_mul_i32 s60, s60, 4                                      // 000000003078: 923C843C
	v_add_u32_e32 v22, s60, v22                                // 00000000307C: 682C2C3C
	s_mul_i32 s60, s2, 0x100                                   // 000000003080: 923CFF02 00000100
	s_mul_i32 s60, s60, 4                                      // 000000003088: 923C843C
	s_mul_i32 s61, s5, s74                                     // 00000000308C: 923D4A05
	s_add_u32 s61, s61, s60                                    // 000000003090: 803D3C3D
	s_add_u32 s32, s61, s32                                    // 000000003094: 8020203D
	s_addc_u32 s33, 0, s33                                     // 000000003098: 82212180
	s_mov_b32 s57, 0x80                                        // 00000000309C: BEB900FF 00000080
	s_mov_b32 s58, 0x800                                       // 0000000030A4: BEBA00FF 00000800
	s_mov_b32 s83, s58                                         // 0000000030AC: BED3003A
	s_mov_b32 s52, 0x7060302                                   // 0000000030B0: BEB400FF 07060302
	s_mov_b32 s53, 0x400                                       // 0000000030B8: BEB500FF 00000400
	s_mov_b32 s54, 0x40100                                     // 0000000030C0: BEB600FF 00040100
	s_mov_b32 s55, 0x4020100                                   // 0000000030C8: BEB700FF 04020100
	s_mov_b32 s6, 0x3fb8aa3b                                   // 0000000030D0: BE8600FF 3FB8AA3B
	s_mov_b32 s78, 0xbd92220c                                  // 0000000030D8: BECE00FF BD92220C
	s_mov_b32 s79, 0xbd92220c                                  // 0000000030E0: BECF00FF BD92220C
	s_mov_b32 m0, s48                                          // 0000000030E8: BEFC0030
	v_mov_b32_e32 v1, 0xbfcc4231                               // 0000000030EC: 7E0202FF BFCC4231
	v_mov_b32_e32 v17, 0xffff0000                              // 0000000030F4: 7E2202FF FFFF0000
	v_mov_b32_e32 v18, 0x7fff0000                              // 0000000030FC: 7E2402FF 7FFF0000
	v_mov_b32_e32 v19, 0x7fff                                  // 000000003104: 7E2602FF 00007FFF
	s_waitcnt vmcnt(0) expcnt(0) lgkmcnt(0)                    // 00000000310C: BF8C0000
	v_lshrrev_b32_e32 v4, 5, v0                                // 000000003110: 20080085
	v_xor_b32_e32 v5, 1, v4                                    // 000000003114: 2A0A0881
	v_readlane_b32 s82, v3, 0                                  // 000000003118: D2890052 00010103
	s_and_b32 s82, s82, 0xffffff                               // 000000003120: 8652FF52 00FFFFFF
	v_mul_lo_u32 v6, v5, s82                                   // 000000003128: D2850006 0000A505
	v_readlane_b32 s82, v3, 1                                  // 000000003130: D2890052 00010303
	s_and_b32 s82, s82, 0xffffff                               // 000000003138: 8652FF52 00FFFFFF
	v_mul_lo_u32 v7, v4, s82                                   // 000000003140: D2850007 0000A504
	v_add_u32_e32 v48, v6, v7                                  // 000000003148: 68600F06
	v_mul_lo_u32 v48, v48, s68                                 // 00000000314C: D2850030 00008930
	v_readlane_b32 s82, v3, 2                                  // 000000003154: D2890052 00010503
	s_and_b32 s82, s82, 0xffffff                               // 00000000315C: 8652FF52 00FFFFFF
	v_mul_lo_u32 v6, v5, s82                                   // 000000003164: D2850006 0000A505
	v_readlane_b32 s82, v3, 3                                  // 00000000316C: D2890052 00010703
	s_and_b32 s82, s82, 0xffffff                               // 000000003174: 8652FF52 00FFFFFF
	v_mul_lo_u32 v7, v4, s82                                   // 00000000317C: D2850007 0000A504
	v_add_u32_e32 v49, v6, v7                                  // 000000003184: 68620F06
	v_mul_lo_u32 v49, v49, s68                                 // 000000003188: D2850031 00008931
	v_readlane_b32 s82, v3, 4                                  // 000000003190: D2890052 00010903
	s_and_b32 s82, s82, 0xffffff                               // 000000003198: 8652FF52 00FFFFFF
	v_mul_lo_u32 v6, v5, s82                                   // 0000000031A0: D2850006 0000A505
	v_readlane_b32 s82, v3, 5                                  // 0000000031A8: D2890052 00010B03
	s_and_b32 s82, s82, 0xffffff                               // 0000000031B0: 8652FF52 00FFFFFF
	v_mul_lo_u32 v7, v4, s82                                   // 0000000031B8: D2850007 0000A504
	v_add_u32_e32 v50, v6, v7                                  // 0000000031C0: 68640F06
	v_mul_lo_u32 v50, v50, s68                                 // 0000000031C4: D2850032 00008932
	v_readlane_b32 s82, v3, 6                                  // 0000000031CC: D2890052 00010D03
	s_and_b32 s82, s82, 0xffffff                               // 0000000031D4: 8652FF52 00FFFFFF
	v_mul_lo_u32 v6, v5, s82                                   // 0000000031DC: D2850006 0000A505
	v_readlane_b32 s82, v3, 7                                  // 0000000031E4: D2890052 00010F03
	s_and_b32 s82, s82, 0xffffff                               // 0000000031EC: 8652FF52 00FFFFFF
	v_mul_lo_u32 v7, v4, s82                                   // 0000000031F4: D2850007 0000A504
	v_add_u32_e32 v51, v6, v7                                  // 0000000031FC: 68660F06
	v_mul_lo_u32 v51, v51, s68                                 // 000000003200: D2850033 00008933
	v_readlane_b32 s82, v3, 8                                  // 000000003208: D2890052 00011103
	s_and_b32 s82, s82, 0xffffff                               // 000000003210: 8652FF52 00FFFFFF
	v_mul_lo_u32 v6, v5, s82                                   // 000000003218: D2850006 0000A505
	v_readlane_b32 s82, v3, 9                                  // 000000003220: D2890052 00011303
	s_and_b32 s82, s82, 0xffffff                               // 000000003228: 8652FF52 00FFFFFF
	v_mul_lo_u32 v7, v4, s82                                   // 000000003230: D2850007 0000A504
	v_add_u32_e32 v52, v6, v7                                  // 000000003238: 68680F06
	v_mul_lo_u32 v52, v52, s68                                 // 00000000323C: D2850034 00008934
	v_readlane_b32 s82, v3, 10                                 // 000000003244: D2890052 00011503
	s_and_b32 s82, s82, 0xffffff                               // 00000000324C: 8652FF52 00FFFFFF
	v_mul_lo_u32 v6, v5, s82                                   // 000000003254: D2850006 0000A505
	v_readlane_b32 s82, v3, 11                                 // 00000000325C: D2890052 00011703
	s_and_b32 s82, s82, 0xffffff                               // 000000003264: 8652FF52 00FFFFFF
	v_mul_lo_u32 v7, v4, s82                                   // 00000000326C: D2850007 0000A504
	v_add_u32_e32 v53, v6, v7                                  // 000000003274: 686A0F06
	v_mul_lo_u32 v53, v53, s68                                 // 000000003278: D2850035 00008935
	v_readlane_b32 s82, v3, 12                                 // 000000003280: D2890052 00011903
	s_and_b32 s82, s82, 0xffffff                               // 000000003288: 8652FF52 00FFFFFF
	v_mul_lo_u32 v6, v5, s82                                   // 000000003290: D2850006 0000A505
	v_readlane_b32 s82, v3, 13                                 // 000000003298: D2890052 00011B03
	s_and_b32 s82, s82, 0xffffff                               // 0000000032A0: 8652FF52 00FFFFFF
	v_mul_lo_u32 v7, v4, s82                                   // 0000000032A8: D2850007 0000A504
	v_add_u32_e32 v54, v6, v7                                  // 0000000032B0: 686C0F06
	v_mul_lo_u32 v54, v54, s68                                 // 0000000032B4: D2850036 00008936
	v_readlane_b32 s82, v3, 14                                 // 0000000032BC: D2890052 00011D03
	s_and_b32 s82, s82, 0xffffff                               // 0000000032C4: 8652FF52 00FFFFFF
	v_mul_lo_u32 v6, v5, s82                                   // 0000000032CC: D2850006 0000A505
	v_readlane_b32 s82, v3, 15                                 // 0000000032D4: D2890052 00011F03
	s_and_b32 s82, s82, 0xffffff                               // 0000000032DC: 8652FF52 00FFFFFF
	v_mul_lo_u32 v7, v4, s82                                   // 0000000032E4: D2850007 0000A504
	v_add_u32_e32 v55, v6, v7                                  // 0000000032EC: 686E0F06
	v_mul_lo_u32 v55, v55, s68                                 // 0000000032F0: D2850037 00008937
	v_readlane_b32 s82, v3, 16                                 // 0000000032F8: D2890052 00012103
	s_and_b32 s82, s82, 0xffffff                               // 000000003300: 8652FF52 00FFFFFF
	v_mul_lo_u32 v6, v5, s82                                   // 000000003308: D2850006 0000A505
	v_readlane_b32 s82, v3, 17                                 // 000000003310: D2890052 00012303
	s_and_b32 s82, s82, 0xffffff                               // 000000003318: 8652FF52 00FFFFFF
	v_mul_lo_u32 v7, v4, s82                                   // 000000003320: D2850007 0000A504
	v_add_u32_e32 v56, v6, v7                                  // 000000003328: 68700F06
	v_mul_lo_u32 v56, v56, s68                                 // 00000000332C: D2850038 00008938
	v_readlane_b32 s82, v3, 18                                 // 000000003334: D2890052 00012503
	s_and_b32 s82, s82, 0xffffff                               // 00000000333C: 8652FF52 00FFFFFF
	v_mul_lo_u32 v6, v5, s82                                   // 000000003344: D2850006 0000A505
	v_readlane_b32 s82, v3, 19                                 // 00000000334C: D2890052 00012703
	s_and_b32 s82, s82, 0xffffff                               // 000000003354: 8652FF52 00FFFFFF
	v_mul_lo_u32 v7, v4, s82                                   // 00000000335C: D2850007 0000A504
	v_add_u32_e32 v57, v6, v7                                  // 000000003364: 68720F06
	v_mul_lo_u32 v57, v57, s68                                 // 000000003368: D2850039 00008939
	v_and_b32_e32 v4, 31, v0                                   // 000000003370: 2608009F
	v_lshlrev_b32_e32 v4, 2, v4                                // 000000003374: 24080882
	v_add_u32_e32 v48, v48, v4                                 // 000000003378: 68600930
	v_add_u32_e32 v49, v49, v4                                 // 00000000337C: 68620931
	v_add_u32_e32 v50, v50, v4                                 // 000000003380: 68640932
	v_add_u32_e32 v51, v51, v4                                 // 000000003384: 68660933
	;; [unrolled: 1-line block ×3, first 2 shown]
	v_add_u32_e32 v53, v53, v4                                 // 00000000338C: 686A0935
	v_add_u32_e32 v54, v54, v4                                 // 000000003390: 686C0936
	v_add_u32_e32 v55, v55, v4                                 // 000000003394: 686E0937
	v_add_u32_e32 v56, v56, v4                                 // 000000003398: 68700938
	v_add_u32_e32 v57, v57, v4                                 // 00000000339C: 68720939
	v_and_b32_e32 v28, 0xffffff, v28                           // 0000000033A0: 263838FF 00FFFFFF
	v_lshlrev_b32_e32 v28, 2, v28                              // 0000000033A8: 24383882
	v_and_b32_e32 v29, 0xffffff, v29                           // 0000000033AC: 263A3AFF 00FFFFFF
	v_lshlrev_b32_e32 v29, 2, v29                              // 0000000033B4: 243A3A82
	v_and_b32_e32 v30, 0xffffff, v30                           // 0000000033B8: 263C3CFF 00FFFFFF
	v_lshlrev_b32_e32 v30, 2, v30                              // 0000000033C0: 243C3C82
	v_and_b32_e32 v31, 0xffffff, v31                           // 0000000033C4: 263E3EFF 00FFFFFF
	v_lshlrev_b32_e32 v31, 2, v31                              // 0000000033CC: 243E3E82
	v_and_b32_e32 v32, 0xffffff, v32                           // 0000000033D0: 264040FF 00FFFFFF
	v_lshlrev_b32_e32 v32, 2, v32                              // 0000000033D8: 24404082
	s_lshl_b32 s3, s66, 2                                      // 0000000033DC: 8E038242
	buffer_load_dword v33, v28, s[28:31], 0 offen              // 0000000033E0: E0501000 8007211C
	buffer_load_dword v34, v29, s[28:31], 0 offen              // 0000000033E8: E0501000 8007221D
	buffer_load_dword v35, v30, s[28:31], 0 offen              // 0000000033F0: E0501000 8007231E
	buffer_load_dword v36, v31, s[28:31], 0 offen              // 0000000033F8: E0501000 8007241F
	buffer_load_dword v37, v32, s[28:31], 0 offen              // 000000003400: E0501000 80072520
	buffer_load_dword v24, v22, s[32:35], 0 offen              // 000000003408: E0501000 80081816
	s_mul_i32 s60, 4, s65                                      // 000000003410: 923C4184
	s_add_u32 s32, s60, s32                                    // 000000003414: 8020203C
	s_addc_u32 s33, 0, s33                                     // 000000003418: 82212180
	buffer_load_dword v26, v22, s[32:35], 0 offen              // 00000000341C: E0501000 80081A16
	buffer_load_dword v48, s[20:23], 0 offen lds               // 000000003424: E0511000 80050030
	s_add_u32 m0, 0x100, s48                                   // 00000000342C: 807C30FF 00000100
	buffer_load_dword v49, s[20:23], 0 offen lds               // 000000003434: E0511000 80050031
	s_add_u32 m0, 0x200, s48                                   // 00000000343C: 807C30FF 00000200
	buffer_load_dword v50, s[20:23], 0 offen lds               // 000000003444: E0511000 80050032
	s_add_u32 m0, 0x300, s48                                   // 00000000344C: 807C30FF 00000300
	buffer_load_dword v51, s[20:23], 0 offen lds               // 000000003454: E0511000 80050033
	s_add_u32 m0, 0x400, s48                                   // 00000000345C: 807C30FF 00000400
	buffer_load_dword v52, s[20:23], 0 offen lds               // 000000003464: E0511000 80050034
	s_add_u32 m0, 0x500, s48                                   // 00000000346C: 807C30FF 00000500
	buffer_load_dword v53, s[20:23], 0 offen lds               // 000000003474: E0511000 80050035
	s_add_u32 m0, 0x600, s48                                   // 00000000347C: 807C30FF 00000600
	buffer_load_dword v54, s[20:23], 0 offen lds               // 000000003484: E0511000 80050036
	s_add_u32 m0, 0x700, s48                                   // 00000000348C: 807C30FF 00000700
	buffer_load_dword v55, s[20:23], 0 offen lds               // 000000003494: E0511000 80050037
	s_add_u32 m0, 0x800, s48                                   // 00000000349C: 807C30FF 00000800
	buffer_load_dword v56, s[20:23], 0 offen lds               // 0000000034A4: E0511000 80050038
	s_add_u32 m0, 0x900, s48                                   // 0000000034AC: 807C30FF 00000900
	buffer_load_dword v57, s[20:23], 0 offen lds               // 0000000034B4: E0511000 80050039
	s_add_u32 m0, 0, s49                                       // 0000000034BC: 807C3180
	s_add_u32 s20, s57, s20                                    // 0000000034C0: 80141439
	s_addc_u32 s21, 0, s21                                     // 0000000034C4: 82151580
	buffer_load_dword v48, s[20:23], 0 offen lds               // 0000000034C8: E0511000 80050030
	s_add_u32 m0, 0x100, s49                                   // 0000000034D0: 807C31FF 00000100
	buffer_load_dword v49, s[20:23], 0 offen lds               // 0000000034D8: E0511000 80050031
	s_add_u32 m0, 0x200, s49                                   // 0000000034E0: 807C31FF 00000200
	buffer_load_dword v50, s[20:23], 0 offen lds               // 0000000034E8: E0511000 80050032
	s_add_u32 m0, 0x300, s49                                   // 0000000034F0: 807C31FF 00000300
	buffer_load_dword v51, s[20:23], 0 offen lds               // 0000000034F8: E0511000 80050033
	s_add_u32 m0, 0x400, s49                                   // 000000003500: 807C31FF 00000400
	buffer_load_dword v52, s[20:23], 0 offen lds               // 000000003508: E0511000 80050034
	s_add_u32 m0, 0x500, s49                                   // 000000003510: 807C31FF 00000500
	buffer_load_dword v53, s[20:23], 0 offen lds               // 000000003518: E0511000 80050035
	;; [unrolled: 2-line block ×6, first 2 shown]
	s_add_u32 m0, 0, s48                                       // 000000003560: 807C3080
	s_add_u32 s20, s57, s20                                    // 000000003564: 80141439
	s_addc_u32 s21, 0, s21                                     // 000000003568: 82151580
	buffer_load_dwordx4 a[80:83], v58, s[24:27], 0 offen       // 00000000356C: E05C1000 8086503A
	buffer_load_dwordx4 a[84:87], v58, s[24:27], 0 offen offset:1024// 000000003574: E05C1400 8086543A
	buffer_load_dwordx4 a[88:91], v59, s[24:27], 0 offen       // 00000000357C: E05C1000 8086583B
	buffer_load_dwordx4 a[92:95], v59, s[24:27], 0 offen offset:1024// 000000003584: E05C1400 80865C3B
	buffer_load_dwordx4 a[96:99], v60, s[24:27], 0 offen       // 00000000358C: E05C1000 8086603C
	buffer_load_dwordx4 a[100:103], v60, s[24:27], 0 offen offset:1024// 000000003594: E05C1400 8086643C
	buffer_load_dwordx4 a[104:107], v61, s[24:27], 0 offen     // 00000000359C: E05C1000 8086683D
	buffer_load_dwordx4 a[108:111], v61, s[24:27], 0 offen offset:1024// 0000000035A4: E05C1400 80866C3D
	s_add_u32 s24, s58, s24                                    // 0000000035AC: 8018183A
	s_addc_u32 s25, 0, s25                                     // 0000000035B0: 82191980
	s_waitcnt vmcnt(18)                                        // 0000000035B4: BF8C4F72
	s_barrier                                                  // 0000000035B8: BF8A0000
	ds_read_b128 a[0:3], v2                                    // 0000000035BC: DBFE0000 00000002
	ds_read_b128 a[4:7], v2 offset:64                          // 0000000035C4: DBFE0040 04000002
	ds_read_b128 a[8:11], v2 offset:512                        // 0000000035CC: DBFE0200 08000002
	ds_read_b128 a[12:15], v2 offset:576                       // 0000000035D4: DBFE0240 0C000002
	ds_read_b128 a[16:19], v2 offset:1024                      // 0000000035DC: DBFE0400 10000002
	ds_read_b128 a[20:23], v2 offset:1088                      // 0000000035E4: DBFE0440 14000002
	ds_read_b128 a[24:27], v2 offset:1536                      // 0000000035EC: DBFE0600 18000002
	ds_read_b128 a[28:31], v2 offset:1600                      // 0000000035F4: DBFE0640 1C000002
	ds_read_b128 a[32:35], v2 offset:2048                      // 0000000035FC: DBFE0800 20000002
	ds_read_b128 a[36:39], v2 offset:2112                      // 000000003604: DBFE0840 24000002
	s_cmp_lt_i32 s7, 2                                         // 00000000360C: BF048207
	s_cbranch_scc0 label_193C                                  // 000000003610: BF841634

0000000000003614 <label_0305>:
	s_waitcnt vmcnt(6) lgkmcnt(0)                              // 000000003614: BF8C0076
	s_barrier                                                  // 000000003618: BF8A0000
	v_mfma_f32_16x16x32_fp8_fp8 v[64:67], a[80:81], a[0:1], v[64:67]// 00000000361C: D3F30040 1D020150
	v_mfma_f32_16x16x32_fp8_fp8 v[64:67], a[82:83], a[2:3], v[64:67]// 000000003624: D3F30040 1D020552
	buffer_load_dwordx4 a[112:115], v58, s[84:87], 0 offen     // 00000000362C: E05C1000 8095703A
	v_mfma_f32_16x16x32_fp8_fp8 v[64:67], a[84:85], a[4:5], v[64:67]// 000000003634: D3F30040 1D020954
	v_mfma_f32_16x16x32_fp8_fp8 v[64:67], a[86:87], a[6:7], v[64:67]// 00000000363C: D3F30040 1D020D56
	v_mfma_f32_16x16x32_fp8_fp8 v[68:71], a[80:81], a[8:9], v[68:71]// 000000003644: D3F30044 1D121150
	v_mfma_f32_16x16x32_fp8_fp8 v[68:71], a[82:83], a[10:11], v[68:71]// 00000000364C: D3F30044 1D121552
	buffer_load_dwordx4 a[116:119], v58, s[84:87], 0 offen offset:1024// 000000003654: E05C1400 8095743A
	v_mfma_f32_16x16x32_fp8_fp8 v[68:71], a[84:85], a[12:13], v[68:71]// 00000000365C: D3F30044 1D121954
	v_mfma_f32_16x16x32_fp8_fp8 v[68:71], a[86:87], a[14:15], v[68:71]// 000000003664: D3F30044 1D121D56
	v_mfma_f32_16x16x32_fp8_fp8 v[72:75], a[80:81], a[16:17], v[72:75]// 00000000366C: D3F30048 1D222150
	v_mfma_f32_16x16x32_fp8_fp8 v[72:75], a[82:83], a[18:19], v[72:75]// 000000003674: D3F30048 1D222552
	buffer_load_dwordx4 a[120:123], v59, s[84:87], 0 offen     // 00000000367C: E05C1000 8095783B
	v_mfma_f32_16x16x32_fp8_fp8 v[72:75], a[84:85], a[20:21], v[72:75]// 000000003684: D3F30048 1D222954
	v_mfma_f32_16x16x32_fp8_fp8 v[72:75], a[86:87], a[22:23], v[72:75]// 00000000368C: D3F30048 1D222D56
	v_mfma_f32_16x16x32_fp8_fp8 v[76:79], a[80:81], a[24:25], v[76:79]// 000000003694: D3F3004C 1D323150
	v_mfma_f32_16x16x32_fp8_fp8 v[76:79], a[82:83], a[26:27], v[76:79]// 00000000369C: D3F3004C 1D323552
	buffer_load_dwordx4 a[124:127], v59, s[84:87], 0 offen offset:1024// 0000000036A4: E05C1400 80957C3B
	v_mfma_f32_16x16x32_fp8_fp8 v[76:79], a[84:85], a[28:29], v[76:79]// 0000000036AC: D3F3004C 1D323954
	v_mfma_f32_16x16x32_fp8_fp8 v[76:79], a[86:87], a[30:31], v[76:79]// 0000000036B4: D3F3004C 1D323D56
	v_mfma_f32_16x16x32_fp8_fp8 v[80:83], a[80:81], a[32:33], v[80:83]// 0000000036BC: D3F30050 1D424150
	v_mfma_f32_16x16x32_fp8_fp8 v[80:83], a[82:83], a[34:35], v[80:83]// 0000000036C4: D3F30050 1D424552
	buffer_load_dwordx4 a[128:131], v60, s[84:87], 0 offen     // 0000000036CC: E05C1000 8095803C
	v_mfma_f32_16x16x32_fp8_fp8 v[80:83], a[84:85], a[36:37], v[80:83]// 0000000036D4: D3F30050 1D424954
	v_mfma_f32_16x16x32_fp8_fp8 v[80:83], a[86:87], a[38:39], v[80:83]// 0000000036DC: D3F30050 1D424D56
	s_waitcnt vmcnt(9)                                         // 0000000036E4: BF8C0F79
	v_mfma_f32_16x16x32_fp8_fp8 v[84:87], a[88:89], a[0:1], v[84:87]// 0000000036E8: D3F30054 1D520158
	v_mfma_f32_16x16x32_fp8_fp8 v[84:87], a[90:91], a[2:3], v[84:87]// 0000000036F0: D3F30054 1D52055A
	buffer_load_dwordx4 a[132:135], v60, s[84:87], 0 offen offset:1024// 0000000036F8: E05C1400 8095843C
	v_mfma_f32_16x16x32_fp8_fp8 v[84:87], a[92:93], a[4:5], v[84:87]// 000000003700: D3F30054 1D52095C
	v_mfma_f32_16x16x32_fp8_fp8 v[84:87], a[94:95], a[6:7], v[84:87]// 000000003708: D3F30054 1D520D5E
	v_mfma_f32_16x16x32_fp8_fp8 v[88:91], a[88:89], a[8:9], v[88:91]// 000000003710: D3F30058 1D621158
	v_mfma_f32_16x16x32_fp8_fp8 v[88:91], a[90:91], a[10:11], v[88:91]// 000000003718: D3F30058 1D62155A
	buffer_load_dwordx4 a[136:139], v61, s[84:87], 0 offen     // 000000003720: E05C1000 8095883D
	v_mfma_f32_16x16x32_fp8_fp8 v[88:91], a[92:93], a[12:13], v[88:91]// 000000003728: D3F30058 1D62195C
	v_mfma_f32_16x16x32_fp8_fp8 v[88:91], a[94:95], a[14:15], v[88:91]// 000000003730: D3F30058 1D621D5E
	v_mfma_f32_16x16x32_fp8_fp8 v[92:95], a[88:89], a[16:17], v[92:95]// 000000003738: D3F3005C 1D722158
	v_mfma_f32_16x16x32_fp8_fp8 v[92:95], a[90:91], a[18:19], v[92:95]// 000000003740: D3F3005C 1D72255A
	buffer_load_dwordx4 a[140:143], v61, s[84:87], 0 offen offset:1024// 000000003748: E05C1400 80958C3D
	buffer_load_dword v48, s[20:23], 0 offen lds               // 000000003750: E0511000 80050030
	s_add_u32 m0, 0x100, s48                                   // 000000003758: 807C30FF 00000100
	v_mfma_f32_16x16x32_fp8_fp8 v[92:95], a[92:93], a[20:21], v[92:95]// 000000003760: D3F3005C 1D72295C
	v_mfma_f32_16x16x32_fp8_fp8 v[92:95], a[94:95], a[22:23], v[92:95]// 000000003768: D3F3005C 1D722D5E
	buffer_load_dword v49, s[20:23], 0 offen lds               // 000000003770: E0511000 80050031
	s_add_u32 m0, 0x200, s48                                   // 000000003778: 807C30FF 00000200
	v_mfma_f32_16x16x32_fp8_fp8 v[96:99], a[88:89], a[24:25], v[96:99]// 000000003780: D3F30060 1D823158
	v_mfma_f32_16x16x32_fp8_fp8 v[96:99], a[90:91], a[26:27], v[96:99]// 000000003788: D3F30060 1D82355A
	buffer_load_dword v50, s[20:23], 0 offen lds               // 000000003790: E0511000 80050032
	s_add_u32 m0, 0x300, s48                                   // 000000003798: 807C30FF 00000300
	v_mfma_f32_16x16x32_fp8_fp8 v[96:99], a[92:93], a[28:29], v[96:99]// 0000000037A0: D3F30060 1D82395C
	v_mfma_f32_16x16x32_fp8_fp8 v[96:99], a[94:95], a[30:31], v[96:99]// 0000000037A8: D3F30060 1D823D5E
	buffer_load_dword v51, s[20:23], 0 offen lds               // 0000000037B0: E0511000 80050033
	s_add_u32 m0, 0x400, s48                                   // 0000000037B8: 807C30FF 00000400
	v_mfma_f32_16x16x32_fp8_fp8 v[100:103], a[88:89], a[32:33], v[100:103]// 0000000037C0: D3F30064 1D924158
	v_mfma_f32_16x16x32_fp8_fp8 v[100:103], a[90:91], a[34:35], v[100:103]// 0000000037C8: D3F30064 1D92455A
	buffer_load_dword v52, s[20:23], 0 offen lds               // 0000000037D0: E0511000 80050034
	s_add_u32 m0, 0x500, s48                                   // 0000000037D8: 807C30FF 00000500
	v_mfma_f32_16x16x32_fp8_fp8 v[100:103], a[92:93], a[36:37], v[100:103]// 0000000037E0: D3F30064 1D92495C
	v_mfma_f32_16x16x32_fp8_fp8 v[100:103], a[94:95], a[38:39], v[100:103]// 0000000037E8: D3F30064 1D924D5E
	buffer_load_dword v53, s[20:23], 0 offen lds               // 0000000037F0: E0511000 80050035
	s_add_u32 m0, 0x600, s48                                   // 0000000037F8: 807C30FF 00000600
	s_waitcnt vmcnt(16)                                        // 000000003800: BF8C4F70
	v_mfma_f32_16x16x32_fp8_fp8 v[104:107], a[96:97], a[0:1], v[104:107]// 000000003804: D3F30068 1DA20160
	v_mfma_f32_16x16x32_fp8_fp8 v[104:107], a[98:99], a[2:3], v[104:107]// 00000000380C: D3F30068 1DA20562
	buffer_load_dword v54, s[20:23], 0 offen lds               // 000000003814: E0511000 80050036
	s_add_u32 m0, 0x700, s48                                   // 00000000381C: 807C30FF 00000700
	v_mfma_f32_16x16x32_fp8_fp8 v[104:107], a[100:101], a[4:5], v[104:107]// 000000003824: D3F30068 1DA20964
	v_mfma_f32_16x16x32_fp8_fp8 v[104:107], a[102:103], a[6:7], v[104:107]// 00000000382C: D3F30068 1DA20D66
	buffer_load_dword v55, s[20:23], 0 offen lds               // 000000003834: E0511000 80050037
	s_add_u32 m0, 0x800, s48                                   // 00000000383C: 807C30FF 00000800
	v_mfma_f32_16x16x32_fp8_fp8 v[108:111], a[96:97], a[8:9], v[108:111]// 000000003844: D3F3006C 1DB21160
	v_mfma_f32_16x16x32_fp8_fp8 v[108:111], a[98:99], a[10:11], v[108:111]// 00000000384C: D3F3006C 1DB21562
	buffer_load_dword v56, s[20:23], 0 offen lds               // 000000003854: E0511000 80050038
	s_add_u32 m0, 0x900, s48                                   // 00000000385C: 807C30FF 00000900
	v_mfma_f32_16x16x32_fp8_fp8 v[108:111], a[100:101], a[12:13], v[108:111]// 000000003864: D3F3006C 1DB21964
	v_mfma_f32_16x16x32_fp8_fp8 v[108:111], a[102:103], a[14:15], v[108:111]// 00000000386C: D3F3006C 1DB21D66
	buffer_load_dword v57, s[20:23], 0 offen lds               // 000000003874: E0511000 80050039
	s_add_u32 m0, 0, s49                                       // 00000000387C: 807C3180
	v_mfma_f32_16x16x32_fp8_fp8 v[112:115], a[96:97], a[16:17], v[112:115]// 000000003880: D3F30070 1DC22160
	v_mfma_f32_16x16x32_fp8_fp8 v[112:115], a[98:99], a[18:19], v[112:115]// 000000003888: D3F30070 1DC22562
	v_mfma_f32_16x16x32_fp8_fp8 v[112:115], a[100:101], a[20:21], v[112:115]// 000000003890: D3F30070 1DC22964
	v_mfma_f32_16x16x32_fp8_fp8 v[112:115], a[102:103], a[22:23], v[112:115]// 000000003898: D3F30070 1DC22D66
	v_mfma_f32_16x16x32_fp8_fp8 v[116:119], a[96:97], a[24:25], v[116:119]// 0000000038A0: D3F30074 1DD23160
	v_mfma_f32_16x16x32_fp8_fp8 v[116:119], a[98:99], a[26:27], v[116:119]// 0000000038A8: D3F30074 1DD23562
	v_mfma_f32_16x16x32_fp8_fp8 v[116:119], a[100:101], a[28:29], v[116:119]// 0000000038B0: D3F30074 1DD23964
	v_mfma_f32_16x16x32_fp8_fp8 v[116:119], a[102:103], a[30:31], v[116:119]// 0000000038B8: D3F30074 1DD23D66
	v_mfma_f32_16x16x32_fp8_fp8 v[120:123], a[96:97], a[32:33], v[120:123]// 0000000038C0: D3F30078 1DE24160
	v_mfma_f32_16x16x32_fp8_fp8 v[120:123], a[98:99], a[34:35], v[120:123]// 0000000038C8: D3F30078 1DE24562
	v_mfma_f32_16x16x32_fp8_fp8 v[120:123], a[100:101], a[36:37], v[120:123]// 0000000038D0: D3F30078 1DE24964
	v_mfma_f32_16x16x32_fp8_fp8 v[120:123], a[102:103], a[38:39], v[120:123]// 0000000038D8: D3F30078 1DE24D66
	s_waitcnt vmcnt(18)                                        // 0000000038E0: BF8C4F72
	v_mfma_f32_16x16x32_fp8_fp8 v[124:127], a[104:105], a[0:1], v[124:127]// 0000000038E4: D3F3007C 1DF20168
	v_mfma_f32_16x16x32_fp8_fp8 v[124:127], a[106:107], a[2:3], v[124:127]// 0000000038EC: D3F3007C 1DF2056A
	v_mfma_f32_16x16x32_fp8_fp8 v[124:127], a[108:109], a[4:5], v[124:127]// 0000000038F4: D3F3007C 1DF2096C
	v_mfma_f32_16x16x32_fp8_fp8 v[124:127], a[110:111], a[6:7], v[124:127]// 0000000038FC: D3F3007C 1DF20D6E
	v_mfma_f32_16x16x32_fp8_fp8 v[128:131], a[104:105], a[8:9], v[128:131]// 000000003904: D3F30080 1E021168
	v_mfma_f32_16x16x32_fp8_fp8 v[128:131], a[106:107], a[10:11], v[128:131]// 00000000390C: D3F30080 1E02156A
	v_mfma_f32_16x16x32_fp8_fp8 v[128:131], a[108:109], a[12:13], v[128:131]// 000000003914: D3F30080 1E02196C
	v_mfma_f32_16x16x32_fp8_fp8 v[128:131], a[110:111], a[14:15], v[128:131]// 00000000391C: D3F30080 1E021D6E
	v_mfma_f32_16x16x32_fp8_fp8 v[132:135], a[104:105], a[16:17], v[132:135]// 000000003924: D3F30084 1E122168
	v_mfma_f32_16x16x32_fp8_fp8 v[132:135], a[106:107], a[18:19], v[132:135]// 00000000392C: D3F30084 1E12256A
	v_mfma_f32_16x16x32_fp8_fp8 v[132:135], a[108:109], a[20:21], v[132:135]// 000000003934: D3F30084 1E12296C
	v_mfma_f32_16x16x32_fp8_fp8 v[132:135], a[110:111], a[22:23], v[132:135]// 00000000393C: D3F30084 1E122D6E
	v_mfma_f32_16x16x32_fp8_fp8 v[136:139], a[104:105], a[24:25], v[136:139]// 000000003944: D3F30088 1E223168
	v_mfma_f32_16x16x32_fp8_fp8 v[136:139], a[106:107], a[26:27], v[136:139]// 00000000394C: D3F30088 1E22356A
	v_mfma_f32_16x16x32_fp8_fp8 v[136:139], a[108:109], a[28:29], v[136:139]// 000000003954: D3F30088 1E22396C
	v_mfma_f32_16x16x32_fp8_fp8 v[136:139], a[110:111], a[30:31], v[136:139]// 00000000395C: D3F30088 1E223D6E
	v_mfma_f32_16x16x32_fp8_fp8 v[140:143], a[104:105], a[32:33], v[140:143]// 000000003964: D3F3008C 1E324168
	v_mfma_f32_16x16x32_fp8_fp8 v[140:143], a[106:107], a[34:35], v[140:143]// 00000000396C: D3F3008C 1E32456A
	s_add_u32 s60, 0x80, s80                                   // 000000003974: 803C50FF 00000080
	s_cmp_lt_u32 s60, s81                                      // 00000000397C: BF0A513C
	s_cselect_b32 s83, s83, 0                                  // 000000003980: 85538053
	v_mfma_f32_16x16x32_fp8_fp8 v[140:143], a[108:109], a[36:37], v[140:143]// 000000003984: D3F3008C 1E32496C
	v_mfma_f32_16x16x32_fp8_fp8 v[140:143], a[110:111], a[38:39], v[140:143]// 00000000398C: D3F3008C 1E324D6E
	s_waitcnt vmcnt(10)                                        // 000000003994: BF8C0F7A
	v_mfma_f32_16x16x32_fp8_fp8 v[144:147], a[112:113], a[0:1], v[144:147]// 000000003998: D3F30090 1E420170
	v_mfma_f32_16x16x32_fp8_fp8 v[144:147], a[114:115], a[2:3], v[144:147]// 0000000039A0: D3F30090 1E420572
	buffer_load_dwordx4 a[80:83], v58, s[24:27], 0 offen       // 0000000039A8: E05C1000 8086503A
	v_mfma_f32_16x16x32_fp8_fp8 v[144:147], a[116:117], a[4:5], v[144:147]// 0000000039B0: D3F30090 1E420974
	v_mfma_f32_16x16x32_fp8_fp8 v[144:147], a[118:119], a[6:7], v[144:147]// 0000000039B8: D3F30090 1E420D76
	ds_read_b128 a[40:43], v2 offset:10368                     // 0000000039C0: DBFE2880 28000002
	ds_read_b128 a[44:47], v2 offset:10432                     // 0000000039C8: DBFE28C0 2C000002
	v_mfma_f32_16x16x32_fp8_fp8 v[164:167], a[120:121], a[0:1], v[164:167]// 0000000039D0: D3F300A4 1E920178
	v_mfma_f32_16x16x32_fp8_fp8 v[164:167], a[122:123], a[2:3], v[164:167]// 0000000039D8: D3F300A4 1E92057A
	buffer_load_dwordx4 a[84:87], v58, s[24:27], 0 offen offset:1024// 0000000039E0: E05C1400 8086543A
	v_mfma_f32_16x16x32_fp8_fp8 v[164:167], a[124:125], a[4:5], v[164:167]// 0000000039E8: D3F300A4 1E92097C
	v_mfma_f32_16x16x32_fp8_fp8 v[164:167], a[126:127], a[6:7], v[164:167]// 0000000039F0: D3F300A4 1E920D7E
	ds_read_b128 a[48:51], v2 offset:10880                     // 0000000039F8: DBFE2A80 30000002
	ds_read_b128 a[52:55], v2 offset:10944                     // 000000003A00: DBFE2AC0 34000002
	v_mfma_f32_16x16x32_fp8_fp8 v[184:187], a[128:129], a[0:1], v[184:187]// 000000003A08: D3F300B8 1EE20180
	v_mfma_f32_16x16x32_fp8_fp8 v[184:187], a[130:131], a[2:3], v[184:187]// 000000003A10: D3F300B8 1EE20582
	buffer_load_dwordx4 a[88:91], v59, s[24:27], 0 offen       // 000000003A18: E05C1000 8086583B
	v_mfma_f32_16x16x32_fp8_fp8 v[184:187], a[132:133], a[4:5], v[184:187]// 000000003A20: D3F300B8 1EE20984
	v_mfma_f32_16x16x32_fp8_fp8 v[184:187], a[134:135], a[6:7], v[184:187]// 000000003A28: D3F300B8 1EE20D86
	ds_read_b128 a[56:59], v2 offset:11392                     // 000000003A30: DBFE2C80 38000002
	ds_read_b128 a[60:63], v2 offset:11456                     // 000000003A38: DBFE2CC0 3C000002
	v_mfma_f32_16x16x32_fp8_fp8 v[204:207], a[136:137], a[0:1], v[204:207]// 000000003A40: D3F300CC 1F320188
	v_mfma_f32_16x16x32_fp8_fp8 v[204:207], a[138:139], a[2:3], v[204:207]// 000000003A48: D3F300CC 1F32058A
	buffer_load_dwordx4 a[92:95], v59, s[24:27], 0 offen offset:1024// 000000003A50: E05C1400 80865C3B
	v_mfma_f32_16x16x32_fp8_fp8 v[204:207], a[140:141], a[4:5], v[204:207]// 000000003A58: D3F300CC 1F32098C
	v_mfma_f32_16x16x32_fp8_fp8 v[204:207], a[142:143], a[6:7], v[204:207]// 000000003A60: D3F300CC 1F320D8E
	ds_read_b128 a[64:67], v2 offset:11904                     // 000000003A68: DBFE2E80 40000002
	ds_read_b128 a[68:71], v2 offset:11968                     // 000000003A70: DBFE2EC0 44000002
	v_mfma_f32_16x16x32_fp8_fp8 v[148:151], a[112:113], a[8:9], v[148:151]// 000000003A78: D3F30094 1E521170
	v_mfma_f32_16x16x32_fp8_fp8 v[148:151], a[114:115], a[10:11], v[148:151]// 000000003A80: D3F30094 1E521572
	buffer_load_dwordx4 a[96:99], v60, s[24:27], 0 offen       // 000000003A88: E05C1000 8086603C
	v_mfma_f32_16x16x32_fp8_fp8 v[148:151], a[116:117], a[12:13], v[148:151]// 000000003A90: D3F30094 1E521974
	v_mfma_f32_16x16x32_fp8_fp8 v[148:151], a[118:119], a[14:15], v[148:151]// 000000003A98: D3F30094 1E521D76
	ds_read_b128 a[72:75], v2 offset:12416                     // 000000003AA0: DBFE3080 48000002
	ds_read_b128 a[76:79], v2 offset:12480                     // 000000003AA8: DBFE30C0 4C000002
	v_mfma_f32_16x16x32_fp8_fp8 v[168:171], a[120:121], a[8:9], v[168:171]// 000000003AB0: D3F300A8 1EA21178
	v_mfma_f32_16x16x32_fp8_fp8 v[168:171], a[122:123], a[10:11], v[168:171]// 000000003AB8: D3F300A8 1EA2157A
	buffer_load_dwordx4 a[100:103], v60, s[24:27], 0 offen offset:1024// 000000003AC0: E05C1400 8086643C
	v_mfma_f32_16x16x32_fp8_fp8 v[168:171], a[124:125], a[12:13], v[168:171]// 000000003AC8: D3F300A8 1EA2197C
	v_mfma_f32_16x16x32_fp8_fp8 v[168:171], a[126:127], a[14:15], v[168:171]// 000000003AD0: D3F300A8 1EA21D7E
	v_mfma_f32_16x16x32_fp8_fp8 v[188:191], a[128:129], a[8:9], v[188:191]// 000000003AD8: D3F300BC 1EF21180
	v_mfma_f32_16x16x32_fp8_fp8 v[188:191], a[130:131], a[10:11], v[188:191]// 000000003AE0: D3F300BC 1EF21582
	buffer_load_dwordx4 a[104:107], v61, s[24:27], 0 offen     // 000000003AE8: E05C1000 8086683D
	v_mfma_f32_16x16x32_fp8_fp8 v[188:191], a[132:133], a[12:13], v[188:191]// 000000003AF0: D3F300BC 1EF21984
	v_mfma_f32_16x16x32_fp8_fp8 v[188:191], a[134:135], a[14:15], v[188:191]// 000000003AF8: D3F300BC 1EF21D86
	v_mfma_f32_16x16x32_fp8_fp8 v[208:211], a[136:137], a[8:9], v[208:211]// 000000003B00: D3F300D0 1F421188
	v_mfma_f32_16x16x32_fp8_fp8 v[208:211], a[138:139], a[10:11], v[208:211]// 000000003B08: D3F300D0 1F42158A
	buffer_load_dwordx4 a[108:111], v61, s[24:27], 0 offen offset:1024// 000000003B10: E05C1400 80866C3D
	v_mfma_f32_16x16x32_fp8_fp8 v[208:211], a[140:141], a[12:13], v[208:211]// 000000003B18: D3F300D0 1F42198C
	v_mfma_f32_16x16x32_fp8_fp8 v[208:211], a[142:143], a[14:15], v[208:211]// 000000003B20: D3F300D0 1F421D8E
	v_mfma_f32_16x16x32_fp8_fp8 v[152:155], a[112:113], a[16:17], v[152:155]// 000000003B28: D3F30098 1E622170
	v_mfma_f32_16x16x32_fp8_fp8 v[152:155], a[114:115], a[18:19], v[152:155]// 000000003B30: D3F30098 1E622572
	v_mfma_f32_16x16x32_fp8_fp8 v[152:155], a[116:117], a[20:21], v[152:155]// 000000003B38: D3F30098 1E622974
	v_mfma_f32_16x16x32_fp8_fp8 v[152:155], a[118:119], a[22:23], v[152:155]// 000000003B40: D3F30098 1E622D76
	v_mfma_f32_16x16x32_fp8_fp8 v[172:175], a[120:121], a[16:17], v[172:175]// 000000003B48: D3F300AC 1EB22178
	v_mfma_f32_16x16x32_fp8_fp8 v[172:175], a[122:123], a[18:19], v[172:175]// 000000003B50: D3F300AC 1EB2257A
	v_mfma_f32_16x16x32_fp8_fp8 v[172:175], a[124:125], a[20:21], v[172:175]// 000000003B58: D3F300AC 1EB2297C
	v_mfma_f32_16x16x32_fp8_fp8 v[172:175], a[126:127], a[22:23], v[172:175]// 000000003B60: D3F300AC 1EB22D7E
	v_mfma_f32_16x16x32_fp8_fp8 v[192:195], a[128:129], a[16:17], v[192:195]// 000000003B68: D3F300C0 1F022180
	v_mfma_f32_16x16x32_fp8_fp8 v[192:195], a[130:131], a[18:19], v[192:195]// 000000003B70: D3F300C0 1F022582
	v_mfma_f32_16x16x32_fp8_fp8 v[192:195], a[132:133], a[20:21], v[192:195]// 000000003B78: D3F300C0 1F022984
	v_mfma_f32_16x16x32_fp8_fp8 v[192:195], a[134:135], a[22:23], v[192:195]// 000000003B80: D3F300C0 1F022D86
	v_mfma_f32_16x16x32_fp8_fp8 v[212:215], a[136:137], a[16:17], v[212:215]// 000000003B88: D3F300D4 1F522188
	v_mfma_f32_16x16x32_fp8_fp8 v[212:215], a[138:139], a[18:19], v[212:215]// 000000003B90: D3F300D4 1F52258A
	v_mfma_f32_16x16x32_fp8_fp8 v[212:215], a[140:141], a[20:21], v[212:215]// 000000003B98: D3F300D4 1F52298C
	v_mfma_f32_16x16x32_fp8_fp8 v[212:215], a[142:143], a[22:23], v[212:215]// 000000003BA0: D3F300D4 1F522D8E
	v_mfma_f32_16x16x32_fp8_fp8 v[156:159], a[112:113], a[24:25], v[156:159]// 000000003BA8: D3F3009C 1E723170
	v_mfma_f32_16x16x32_fp8_fp8 v[156:159], a[114:115], a[26:27], v[156:159]// 000000003BB0: D3F3009C 1E723572
	v_mfma_f32_16x16x32_fp8_fp8 v[156:159], a[116:117], a[28:29], v[156:159]// 000000003BB8: D3F3009C 1E723974
	v_mfma_f32_16x16x32_fp8_fp8 v[156:159], a[118:119], a[30:31], v[156:159]// 000000003BC0: D3F3009C 1E723D76
	v_mfma_f32_16x16x32_fp8_fp8 v[176:179], a[120:121], a[24:25], v[176:179]// 000000003BC8: D3F300B0 1EC23178
	v_mfma_f32_16x16x32_fp8_fp8 v[176:179], a[122:123], a[26:27], v[176:179]// 000000003BD0: D3F300B0 1EC2357A
	v_mfma_f32_16x16x32_fp8_fp8 v[176:179], a[124:125], a[28:29], v[176:179]// 000000003BD8: D3F300B0 1EC2397C
	v_mfma_f32_16x16x32_fp8_fp8 v[176:179], a[126:127], a[30:31], v[176:179]// 000000003BE0: D3F300B0 1EC23D7E
	v_mfma_f32_16x16x32_fp8_fp8 v[196:199], a[128:129], a[24:25], v[196:199]// 000000003BE8: D3F300C4 1F123180
	v_mfma_f32_16x16x32_fp8_fp8 v[196:199], a[130:131], a[26:27], v[196:199]// 000000003BF0: D3F300C4 1F123582
	v_mfma_f32_16x16x32_fp8_fp8 v[196:199], a[132:133], a[28:29], v[196:199]// 000000003BF8: D3F300C4 1F123984
	v_mfma_f32_16x16x32_fp8_fp8 v[196:199], a[134:135], a[30:31], v[196:199]// 000000003C00: D3F300C4 1F123D86
	v_mfma_f32_16x16x32_fp8_fp8 v[216:219], a[136:137], a[24:25], v[216:219]// 000000003C08: D3F300D8 1F623188
	v_mfma_f32_16x16x32_fp8_fp8 v[216:219], a[138:139], a[26:27], v[216:219]// 000000003C10: D3F300D8 1F62358A
	v_mfma_f32_16x16x32_fp8_fp8 v[216:219], a[140:141], a[28:29], v[216:219]// 000000003C18: D3F300D8 1F62398C
	v_mfma_f32_16x16x32_fp8_fp8 v[216:219], a[142:143], a[30:31], v[216:219]// 000000003C20: D3F300D8 1F623D8E
	v_mfma_f32_16x16x32_fp8_fp8 v[160:163], a[112:113], a[32:33], v[160:163]// 000000003C28: D3F300A0 1E824170
	v_mfma_f32_16x16x32_fp8_fp8 v[160:163], a[114:115], a[34:35], v[160:163]// 000000003C30: D3F300A0 1E824572
	v_mfma_f32_16x16x32_fp8_fp8 v[160:163], a[116:117], a[36:37], v[160:163]// 000000003C38: D3F300A0 1E824974
	v_mfma_f32_16x16x32_fp8_fp8 v[160:163], a[118:119], a[38:39], v[160:163]// 000000003C40: D3F300A0 1E824D76
	v_mfma_f32_16x16x32_fp8_fp8 v[180:183], a[120:121], a[32:33], v[180:183]// 000000003C48: D3F300B4 1ED24178
	v_mfma_f32_16x16x32_fp8_fp8 v[180:183], a[122:123], a[34:35], v[180:183]// 000000003C50: D3F300B4 1ED2457A
	v_mfma_f32_16x16x32_fp8_fp8 v[180:183], a[124:125], a[36:37], v[180:183]// 000000003C58: D3F300B4 1ED2497C
	v_mfma_f32_16x16x32_fp8_fp8 v[180:183], a[126:127], a[38:39], v[180:183]// 000000003C60: D3F300B4 1ED24D7E
	v_mfma_f32_16x16x32_fp8_fp8 v[200:203], a[128:129], a[32:33], v[200:203]// 000000003C68: D3F300C8 1F224180
	v_mfma_f32_16x16x32_fp8_fp8 v[200:203], a[130:131], a[34:35], v[200:203]// 000000003C70: D3F300C8 1F224582
	v_mfma_f32_16x16x32_fp8_fp8 v[200:203], a[132:133], a[36:37], v[200:203]// 000000003C78: D3F300C8 1F224984
	s_add_u32 s60, 0x180, s80                                  // 000000003C80: 803C50FF 00000180
	s_cmp_lt_u32 s60, s81                                      // 000000003C88: BF0A513C
	s_cselect_b32 s57, s57, 0                                  // 000000003C8C: 85398039
	v_mfma_f32_16x16x32_fp8_fp8 v[200:203], a[134:135], a[38:39], v[200:203]// 000000003C90: D3F300C8 1F224D86
	s_add_u32 s60, 0x100, s80                                  // 000000003C98: 803C50FF 00000100
	s_cmp_lt_u32 s60, s81                                      // 000000003CA0: BF0A513C
	s_cselect_b32 s58, s58, 0                                  // 000000003CA4: 853A803A
	v_mfma_f32_16x16x32_fp8_fp8 v[220:223], a[136:137], a[32:33], v[220:223]// 000000003CA8: D3F300DC 1F724188
	s_add_u32 s24, s58, s24                                    // 000000003CB0: 8018183A
	s_addc_u32 s25, 0, s25                                     // 000000003CB4: 82191980
	v_mfma_f32_16x16x32_fp8_fp8 v[220:223], a[138:139], a[34:35], v[220:223]// 000000003CB8: D3F300DC 1F72458A
	s_add_u32 s20, s57, s20                                    // 000000003CC0: 80141439
	s_addc_u32 s21, 0, s21                                     // 000000003CC4: 82151580
	v_mfma_f32_16x16x32_fp8_fp8 v[220:223], a[140:141], a[36:37], v[220:223]// 000000003CC8: D3F300DC 1F72498C
	s_add_u32 s84, s83, s84                                    // 000000003CD0: 80545453
	s_addc_u32 s85, 0, s85                                     // 000000003CD4: 82555580
	v_mfma_f32_16x16x32_fp8_fp8 v[220:223], a[142:143], a[38:39], v[220:223]// 000000003CD8: D3F300DC 1F724D8E
	s_addk_i32 s80, 0x80                                       // 000000003CE0: B7500080
	s_cmp_lt_i32 s80, s81                                      // 000000003CE4: BF045150
	s_cbranch_scc0 label_0672                                  // 000000003CE8: BF8401B7
	s_waitcnt vmcnt(6) lgkmcnt(0)                              // 000000003CEC: BF8C0076
	s_barrier                                                  // 000000003CF0: BF8A0000
	v_mfma_f32_16x16x32_fp8_fp8 v[64:67], a[80:81], a[40:41], v[64:67]// 000000003CF4: D3F30040 1D025150
	v_mfma_f32_16x16x32_fp8_fp8 v[64:67], a[82:83], a[42:43], v[64:67]// 000000003CFC: D3F30040 1D025552
	buffer_load_dwordx4 a[112:115], v58, s[84:87], 0 offen     // 000000003D04: E05C1000 8095703A
	v_mfma_f32_16x16x32_fp8_fp8 v[64:67], a[84:85], a[44:45], v[64:67]// 000000003D0C: D3F30040 1D025954
	v_mfma_f32_16x16x32_fp8_fp8 v[64:67], a[86:87], a[46:47], v[64:67]// 000000003D14: D3F30040 1D025D56
	v_mfma_f32_16x16x32_fp8_fp8 v[68:71], a[80:81], a[48:49], v[68:71]// 000000003D1C: D3F30044 1D126150
	v_mfma_f32_16x16x32_fp8_fp8 v[68:71], a[82:83], a[50:51], v[68:71]// 000000003D24: D3F30044 1D126552
	buffer_load_dwordx4 a[116:119], v58, s[84:87], 0 offen offset:1024// 000000003D2C: E05C1400 8095743A
	v_mfma_f32_16x16x32_fp8_fp8 v[68:71], a[84:85], a[52:53], v[68:71]// 000000003D34: D3F30044 1D126954
	v_mfma_f32_16x16x32_fp8_fp8 v[68:71], a[86:87], a[54:55], v[68:71]// 000000003D3C: D3F30044 1D126D56
	v_mfma_f32_16x16x32_fp8_fp8 v[72:75], a[80:81], a[56:57], v[72:75]// 000000003D44: D3F30048 1D227150
	v_mfma_f32_16x16x32_fp8_fp8 v[72:75], a[82:83], a[58:59], v[72:75]// 000000003D4C: D3F30048 1D227552
	buffer_load_dwordx4 a[120:123], v59, s[84:87], 0 offen     // 000000003D54: E05C1000 8095783B
	v_mfma_f32_16x16x32_fp8_fp8 v[72:75], a[84:85], a[60:61], v[72:75]// 000000003D5C: D3F30048 1D227954
	v_mfma_f32_16x16x32_fp8_fp8 v[72:75], a[86:87], a[62:63], v[72:75]// 000000003D64: D3F30048 1D227D56
	v_mfma_f32_16x16x32_fp8_fp8 v[76:79], a[80:81], a[64:65], v[76:79]// 000000003D6C: D3F3004C 1D328150
	v_mfma_f32_16x16x32_fp8_fp8 v[76:79], a[82:83], a[66:67], v[76:79]// 000000003D74: D3F3004C 1D328552
	buffer_load_dwordx4 a[124:127], v59, s[84:87], 0 offen offset:1024// 000000003D7C: E05C1400 80957C3B
	v_mfma_f32_16x16x32_fp8_fp8 v[76:79], a[84:85], a[68:69], v[76:79]// 000000003D84: D3F3004C 1D328954
	v_mfma_f32_16x16x32_fp8_fp8 v[76:79], a[86:87], a[70:71], v[76:79]// 000000003D8C: D3F3004C 1D328D56
	v_mfma_f32_16x16x32_fp8_fp8 v[80:83], a[80:81], a[72:73], v[80:83]// 000000003D94: D3F30050 1D429150
	v_mfma_f32_16x16x32_fp8_fp8 v[80:83], a[82:83], a[74:75], v[80:83]// 000000003D9C: D3F30050 1D429552
	buffer_load_dwordx4 a[128:131], v60, s[84:87], 0 offen     // 000000003DA4: E05C1000 8095803C
	v_mfma_f32_16x16x32_fp8_fp8 v[80:83], a[84:85], a[76:77], v[80:83]// 000000003DAC: D3F30050 1D429954
	v_mfma_f32_16x16x32_fp8_fp8 v[80:83], a[86:87], a[78:79], v[80:83]// 000000003DB4: D3F30050 1D429D56
	s_waitcnt vmcnt(9)                                         // 000000003DBC: BF8C0F79
	v_mfma_f32_16x16x32_fp8_fp8 v[84:87], a[88:89], a[40:41], v[84:87]// 000000003DC0: D3F30054 1D525158
	v_mfma_f32_16x16x32_fp8_fp8 v[84:87], a[90:91], a[42:43], v[84:87]// 000000003DC8: D3F30054 1D52555A
	buffer_load_dwordx4 a[132:135], v60, s[84:87], 0 offen offset:1024// 000000003DD0: E05C1400 8095843C
	v_mfma_f32_16x16x32_fp8_fp8 v[84:87], a[92:93], a[44:45], v[84:87]// 000000003DD8: D3F30054 1D52595C
	v_mfma_f32_16x16x32_fp8_fp8 v[84:87], a[94:95], a[46:47], v[84:87]// 000000003DE0: D3F30054 1D525D5E
	v_mfma_f32_16x16x32_fp8_fp8 v[88:91], a[88:89], a[48:49], v[88:91]// 000000003DE8: D3F30058 1D626158
	v_mfma_f32_16x16x32_fp8_fp8 v[88:91], a[90:91], a[50:51], v[88:91]// 000000003DF0: D3F30058 1D62655A
	buffer_load_dwordx4 a[136:139], v61, s[84:87], 0 offen     // 000000003DF8: E05C1000 8095883D
	v_mfma_f32_16x16x32_fp8_fp8 v[88:91], a[92:93], a[52:53], v[88:91]// 000000003E00: D3F30058 1D62695C
	v_mfma_f32_16x16x32_fp8_fp8 v[88:91], a[94:95], a[54:55], v[88:91]// 000000003E08: D3F30058 1D626D5E
	v_mfma_f32_16x16x32_fp8_fp8 v[92:95], a[88:89], a[56:57], v[92:95]// 000000003E10: D3F3005C 1D727158
	v_mfma_f32_16x16x32_fp8_fp8 v[92:95], a[90:91], a[58:59], v[92:95]// 000000003E18: D3F3005C 1D72755A
	buffer_load_dwordx4 a[140:143], v61, s[84:87], 0 offen offset:1024// 000000003E20: E05C1400 80958C3D
	buffer_load_dword v48, s[20:23], 0 offen lds               // 000000003E28: E0511000 80050030
	s_add_u32 m0, 0x100, s49                                   // 000000003E30: 807C31FF 00000100
	v_mfma_f32_16x16x32_fp8_fp8 v[92:95], a[92:93], a[60:61], v[92:95]// 000000003E38: D3F3005C 1D72795C
	v_mfma_f32_16x16x32_fp8_fp8 v[92:95], a[94:95], a[62:63], v[92:95]// 000000003E40: D3F3005C 1D727D5E
	buffer_load_dword v49, s[20:23], 0 offen lds               // 000000003E48: E0511000 80050031
	s_add_u32 m0, 0x200, s49                                   // 000000003E50: 807C31FF 00000200
	v_mfma_f32_16x16x32_fp8_fp8 v[96:99], a[88:89], a[64:65], v[96:99]// 000000003E58: D3F30060 1D828158
	v_mfma_f32_16x16x32_fp8_fp8 v[96:99], a[90:91], a[66:67], v[96:99]// 000000003E60: D3F30060 1D82855A
	buffer_load_dword v50, s[20:23], 0 offen lds               // 000000003E68: E0511000 80050032
	s_add_u32 m0, 0x300, s49                                   // 000000003E70: 807C31FF 00000300
	v_mfma_f32_16x16x32_fp8_fp8 v[96:99], a[92:93], a[68:69], v[96:99]// 000000003E78: D3F30060 1D82895C
	v_mfma_f32_16x16x32_fp8_fp8 v[96:99], a[94:95], a[70:71], v[96:99]// 000000003E80: D3F30060 1D828D5E
	buffer_load_dword v51, s[20:23], 0 offen lds               // 000000003E88: E0511000 80050033
	s_add_u32 m0, 0x400, s49                                   // 000000003E90: 807C31FF 00000400
	v_mfma_f32_16x16x32_fp8_fp8 v[100:103], a[88:89], a[72:73], v[100:103]// 000000003E98: D3F30064 1D929158
	v_mfma_f32_16x16x32_fp8_fp8 v[100:103], a[90:91], a[74:75], v[100:103]// 000000003EA0: D3F30064 1D92955A
	buffer_load_dword v52, s[20:23], 0 offen lds               // 000000003EA8: E0511000 80050034
	s_add_u32 m0, 0x500, s49                                   // 000000003EB0: 807C31FF 00000500
	v_mfma_f32_16x16x32_fp8_fp8 v[100:103], a[92:93], a[76:77], v[100:103]// 000000003EB8: D3F30064 1D92995C
	v_mfma_f32_16x16x32_fp8_fp8 v[100:103], a[94:95], a[78:79], v[100:103]// 000000003EC0: D3F30064 1D929D5E
	buffer_load_dword v53, s[20:23], 0 offen lds               // 000000003EC8: E0511000 80050035
	s_add_u32 m0, 0x600, s49                                   // 000000003ED0: 807C31FF 00000600
	s_waitcnt vmcnt(16)                                        // 000000003ED8: BF8C4F70
	v_mfma_f32_16x16x32_fp8_fp8 v[104:107], a[96:97], a[40:41], v[104:107]// 000000003EDC: D3F30068 1DA25160
	v_mfma_f32_16x16x32_fp8_fp8 v[104:107], a[98:99], a[42:43], v[104:107]// 000000003EE4: D3F30068 1DA25562
	buffer_load_dword v54, s[20:23], 0 offen lds               // 000000003EEC: E0511000 80050036
	s_add_u32 m0, 0x700, s49                                   // 000000003EF4: 807C31FF 00000700
	v_mfma_f32_16x16x32_fp8_fp8 v[104:107], a[100:101], a[44:45], v[104:107]// 000000003EFC: D3F30068 1DA25964
	v_mfma_f32_16x16x32_fp8_fp8 v[104:107], a[102:103], a[46:47], v[104:107]// 000000003F04: D3F30068 1DA25D66
	buffer_load_dword v55, s[20:23], 0 offen lds               // 000000003F0C: E0511000 80050037
	s_add_u32 m0, 0x800, s49                                   // 000000003F14: 807C31FF 00000800
	v_mfma_f32_16x16x32_fp8_fp8 v[108:111], a[96:97], a[48:49], v[108:111]// 000000003F1C: D3F3006C 1DB26160
	v_mfma_f32_16x16x32_fp8_fp8 v[108:111], a[98:99], a[50:51], v[108:111]// 000000003F24: D3F3006C 1DB26562
	buffer_load_dword v56, s[20:23], 0 offen lds               // 000000003F2C: E0511000 80050038
	s_add_u32 m0, 0x900, s49                                   // 000000003F34: 807C31FF 00000900
	v_mfma_f32_16x16x32_fp8_fp8 v[108:111], a[100:101], a[52:53], v[108:111]// 000000003F3C: D3F3006C 1DB26964
	v_mfma_f32_16x16x32_fp8_fp8 v[108:111], a[102:103], a[54:55], v[108:111]// 000000003F44: D3F3006C 1DB26D66
	buffer_load_dword v57, s[20:23], 0 offen lds               // 000000003F4C: E0511000 80050039
	s_add_u32 m0, 0, s48                                       // 000000003F54: 807C3080
	v_mfma_f32_16x16x32_fp8_fp8 v[112:115], a[96:97], a[56:57], v[112:115]// 000000003F58: D3F30070 1DC27160
	v_mfma_f32_16x16x32_fp8_fp8 v[112:115], a[98:99], a[58:59], v[112:115]// 000000003F60: D3F30070 1DC27562
	v_mfma_f32_16x16x32_fp8_fp8 v[112:115], a[100:101], a[60:61], v[112:115]// 000000003F68: D3F30070 1DC27964
	v_mfma_f32_16x16x32_fp8_fp8 v[112:115], a[102:103], a[62:63], v[112:115]// 000000003F70: D3F30070 1DC27D66
	v_mfma_f32_16x16x32_fp8_fp8 v[116:119], a[96:97], a[64:65], v[116:119]// 000000003F78: D3F30074 1DD28160
	v_mfma_f32_16x16x32_fp8_fp8 v[116:119], a[98:99], a[66:67], v[116:119]// 000000003F80: D3F30074 1DD28562
	v_mfma_f32_16x16x32_fp8_fp8 v[116:119], a[100:101], a[68:69], v[116:119]// 000000003F88: D3F30074 1DD28964
	v_mfma_f32_16x16x32_fp8_fp8 v[116:119], a[102:103], a[70:71], v[116:119]// 000000003F90: D3F30074 1DD28D66
	v_mfma_f32_16x16x32_fp8_fp8 v[120:123], a[96:97], a[72:73], v[120:123]// 000000003F98: D3F30078 1DE29160
	v_mfma_f32_16x16x32_fp8_fp8 v[120:123], a[98:99], a[74:75], v[120:123]// 000000003FA0: D3F30078 1DE29562
	v_mfma_f32_16x16x32_fp8_fp8 v[120:123], a[100:101], a[76:77], v[120:123]// 000000003FA8: D3F30078 1DE29964
	v_mfma_f32_16x16x32_fp8_fp8 v[120:123], a[102:103], a[78:79], v[120:123]// 000000003FB0: D3F30078 1DE29D66
	s_waitcnt vmcnt(18)                                        // 000000003FB8: BF8C4F72
	v_mfma_f32_16x16x32_fp8_fp8 v[124:127], a[104:105], a[40:41], v[124:127]// 000000003FBC: D3F3007C 1DF25168
	v_mfma_f32_16x16x32_fp8_fp8 v[124:127], a[106:107], a[42:43], v[124:127]// 000000003FC4: D3F3007C 1DF2556A
	v_mfma_f32_16x16x32_fp8_fp8 v[124:127], a[108:109], a[44:45], v[124:127]// 000000003FCC: D3F3007C 1DF2596C
	v_mfma_f32_16x16x32_fp8_fp8 v[124:127], a[110:111], a[46:47], v[124:127]// 000000003FD4: D3F3007C 1DF25D6E
	v_mfma_f32_16x16x32_fp8_fp8 v[128:131], a[104:105], a[48:49], v[128:131]// 000000003FDC: D3F30080 1E026168
	v_mfma_f32_16x16x32_fp8_fp8 v[128:131], a[106:107], a[50:51], v[128:131]// 000000003FE4: D3F30080 1E02656A
	v_mfma_f32_16x16x32_fp8_fp8 v[128:131], a[108:109], a[52:53], v[128:131]// 000000003FEC: D3F30080 1E02696C
	v_mfma_f32_16x16x32_fp8_fp8 v[128:131], a[110:111], a[54:55], v[128:131]// 000000003FF4: D3F30080 1E026D6E
	v_mfma_f32_16x16x32_fp8_fp8 v[132:135], a[104:105], a[56:57], v[132:135]// 000000003FFC: D3F30084 1E127168
	v_mfma_f32_16x16x32_fp8_fp8 v[132:135], a[106:107], a[58:59], v[132:135]// 000000004004: D3F30084 1E12756A
	v_mfma_f32_16x16x32_fp8_fp8 v[132:135], a[108:109], a[60:61], v[132:135]// 00000000400C: D3F30084 1E12796C
	v_mfma_f32_16x16x32_fp8_fp8 v[132:135], a[110:111], a[62:63], v[132:135]// 000000004014: D3F30084 1E127D6E
	v_mfma_f32_16x16x32_fp8_fp8 v[136:139], a[104:105], a[64:65], v[136:139]// 00000000401C: D3F30088 1E228168
	v_mfma_f32_16x16x32_fp8_fp8 v[136:139], a[106:107], a[66:67], v[136:139]// 000000004024: D3F30088 1E22856A
	v_mfma_f32_16x16x32_fp8_fp8 v[136:139], a[108:109], a[68:69], v[136:139]// 00000000402C: D3F30088 1E22896C
	v_mfma_f32_16x16x32_fp8_fp8 v[136:139], a[110:111], a[70:71], v[136:139]// 000000004034: D3F30088 1E228D6E
	v_mfma_f32_16x16x32_fp8_fp8 v[140:143], a[104:105], a[72:73], v[140:143]// 00000000403C: D3F3008C 1E329168
	v_mfma_f32_16x16x32_fp8_fp8 v[140:143], a[106:107], a[74:75], v[140:143]// 000000004044: D3F3008C 1E32956A
	s_add_u32 s60, 0x80, s80                                   // 00000000404C: 803C50FF 00000080
	s_cmp_lt_u32 s60, s81                                      // 000000004054: BF0A513C
	s_cselect_b32 s83, s83, 0                                  // 000000004058: 85538053
	v_mfma_f32_16x16x32_fp8_fp8 v[140:143], a[108:109], a[76:77], v[140:143]// 00000000405C: D3F3008C 1E32996C
	v_mfma_f32_16x16x32_fp8_fp8 v[140:143], a[110:111], a[78:79], v[140:143]// 000000004064: D3F3008C 1E329D6E
	s_waitcnt vmcnt(10)                                        // 00000000406C: BF8C0F7A
	v_mfma_f32_16x16x32_fp8_fp8 v[144:147], a[112:113], a[40:41], v[144:147]// 000000004070: D3F30090 1E425170
	v_mfma_f32_16x16x32_fp8_fp8 v[144:147], a[114:115], a[42:43], v[144:147]// 000000004078: D3F30090 1E425572
	buffer_load_dwordx4 a[80:83], v58, s[24:27], 0 offen       // 000000004080: E05C1000 8086503A
	v_mfma_f32_16x16x32_fp8_fp8 v[144:147], a[116:117], a[44:45], v[144:147]// 000000004088: D3F30090 1E425974
	v_mfma_f32_16x16x32_fp8_fp8 v[144:147], a[118:119], a[46:47], v[144:147]// 000000004090: D3F30090 1E425D76
	ds_read_b128 a[0:3], v2                                    // 000000004098: DBFE0000 00000002
	ds_read_b128 a[4:7], v2 offset:64                          // 0000000040A0: DBFE0040 04000002
	v_mfma_f32_16x16x32_fp8_fp8 v[164:167], a[120:121], a[40:41], v[164:167]// 0000000040A8: D3F300A4 1E925178
	v_mfma_f32_16x16x32_fp8_fp8 v[164:167], a[122:123], a[42:43], v[164:167]// 0000000040B0: D3F300A4 1E92557A
	buffer_load_dwordx4 a[84:87], v58, s[24:27], 0 offen offset:1024// 0000000040B8: E05C1400 8086543A
	v_mfma_f32_16x16x32_fp8_fp8 v[164:167], a[124:125], a[44:45], v[164:167]// 0000000040C0: D3F300A4 1E92597C
	v_mfma_f32_16x16x32_fp8_fp8 v[164:167], a[126:127], a[46:47], v[164:167]// 0000000040C8: D3F300A4 1E925D7E
	ds_read_b128 a[8:11], v2 offset:512                        // 0000000040D0: DBFE0200 08000002
	ds_read_b128 a[12:15], v2 offset:576                       // 0000000040D8: DBFE0240 0C000002
	v_mfma_f32_16x16x32_fp8_fp8 v[184:187], a[128:129], a[40:41], v[184:187]// 0000000040E0: D3F300B8 1EE25180
	v_mfma_f32_16x16x32_fp8_fp8 v[184:187], a[130:131], a[42:43], v[184:187]// 0000000040E8: D3F300B8 1EE25582
	buffer_load_dwordx4 a[88:91], v59, s[24:27], 0 offen       // 0000000040F0: E05C1000 8086583B
	v_mfma_f32_16x16x32_fp8_fp8 v[184:187], a[132:133], a[44:45], v[184:187]// 0000000040F8: D3F300B8 1EE25984
	v_mfma_f32_16x16x32_fp8_fp8 v[184:187], a[134:135], a[46:47], v[184:187]// 000000004100: D3F300B8 1EE25D86
	ds_read_b128 a[16:19], v2 offset:1024                      // 000000004108: DBFE0400 10000002
	ds_read_b128 a[20:23], v2 offset:1088                      // 000000004110: DBFE0440 14000002
	v_mfma_f32_16x16x32_fp8_fp8 v[204:207], a[136:137], a[40:41], v[204:207]// 000000004118: D3F300CC 1F325188
	v_mfma_f32_16x16x32_fp8_fp8 v[204:207], a[138:139], a[42:43], v[204:207]// 000000004120: D3F300CC 1F32558A
	buffer_load_dwordx4 a[92:95], v59, s[24:27], 0 offen offset:1024// 000000004128: E05C1400 80865C3B
	v_mfma_f32_16x16x32_fp8_fp8 v[204:207], a[140:141], a[44:45], v[204:207]// 000000004130: D3F300CC 1F32598C
	v_mfma_f32_16x16x32_fp8_fp8 v[204:207], a[142:143], a[46:47], v[204:207]// 000000004138: D3F300CC 1F325D8E
	ds_read_b128 a[24:27], v2 offset:1536                      // 000000004140: DBFE0600 18000002
	ds_read_b128 a[28:31], v2 offset:1600                      // 000000004148: DBFE0640 1C000002
	v_mfma_f32_16x16x32_fp8_fp8 v[148:151], a[112:113], a[48:49], v[148:151]// 000000004150: D3F30094 1E526170
	v_mfma_f32_16x16x32_fp8_fp8 v[148:151], a[114:115], a[50:51], v[148:151]// 000000004158: D3F30094 1E526572
	buffer_load_dwordx4 a[96:99], v60, s[24:27], 0 offen       // 000000004160: E05C1000 8086603C
	v_mfma_f32_16x16x32_fp8_fp8 v[148:151], a[116:117], a[52:53], v[148:151]// 000000004168: D3F30094 1E526974
	v_mfma_f32_16x16x32_fp8_fp8 v[148:151], a[118:119], a[54:55], v[148:151]// 000000004170: D3F30094 1E526D76
	ds_read_b128 a[32:35], v2 offset:2048                      // 000000004178: DBFE0800 20000002
	ds_read_b128 a[36:39], v2 offset:2112                      // 000000004180: DBFE0840 24000002
	v_mfma_f32_16x16x32_fp8_fp8 v[168:171], a[120:121], a[48:49], v[168:171]// 000000004188: D3F300A8 1EA26178
	v_mfma_f32_16x16x32_fp8_fp8 v[168:171], a[122:123], a[50:51], v[168:171]// 000000004190: D3F300A8 1EA2657A
	buffer_load_dwordx4 a[100:103], v60, s[24:27], 0 offen offset:1024// 000000004198: E05C1400 8086643C
	v_mfma_f32_16x16x32_fp8_fp8 v[168:171], a[124:125], a[52:53], v[168:171]// 0000000041A0: D3F300A8 1EA2697C
	v_mfma_f32_16x16x32_fp8_fp8 v[168:171], a[126:127], a[54:55], v[168:171]// 0000000041A8: D3F300A8 1EA26D7E
	v_mfma_f32_16x16x32_fp8_fp8 v[188:191], a[128:129], a[48:49], v[188:191]// 0000000041B0: D3F300BC 1EF26180
	v_mfma_f32_16x16x32_fp8_fp8 v[188:191], a[130:131], a[50:51], v[188:191]// 0000000041B8: D3F300BC 1EF26582
	buffer_load_dwordx4 a[104:107], v61, s[24:27], 0 offen     // 0000000041C0: E05C1000 8086683D
	v_mfma_f32_16x16x32_fp8_fp8 v[188:191], a[132:133], a[52:53], v[188:191]// 0000000041C8: D3F300BC 1EF26984
	v_mfma_f32_16x16x32_fp8_fp8 v[188:191], a[134:135], a[54:55], v[188:191]// 0000000041D0: D3F300BC 1EF26D86
	v_mfma_f32_16x16x32_fp8_fp8 v[208:211], a[136:137], a[48:49], v[208:211]// 0000000041D8: D3F300D0 1F426188
	v_mfma_f32_16x16x32_fp8_fp8 v[208:211], a[138:139], a[50:51], v[208:211]// 0000000041E0: D3F300D0 1F42658A
	buffer_load_dwordx4 a[108:111], v61, s[24:27], 0 offen offset:1024// 0000000041E8: E05C1400 80866C3D
	v_mfma_f32_16x16x32_fp8_fp8 v[208:211], a[140:141], a[52:53], v[208:211]// 0000000041F0: D3F300D0 1F42698C
	v_mfma_f32_16x16x32_fp8_fp8 v[208:211], a[142:143], a[54:55], v[208:211]// 0000000041F8: D3F300D0 1F426D8E
	v_mfma_f32_16x16x32_fp8_fp8 v[152:155], a[112:113], a[56:57], v[152:155]// 000000004200: D3F30098 1E627170
	v_mfma_f32_16x16x32_fp8_fp8 v[152:155], a[114:115], a[58:59], v[152:155]// 000000004208: D3F30098 1E627572
	v_mfma_f32_16x16x32_fp8_fp8 v[152:155], a[116:117], a[60:61], v[152:155]// 000000004210: D3F30098 1E627974
	v_mfma_f32_16x16x32_fp8_fp8 v[152:155], a[118:119], a[62:63], v[152:155]// 000000004218: D3F30098 1E627D76
	v_mfma_f32_16x16x32_fp8_fp8 v[172:175], a[120:121], a[56:57], v[172:175]// 000000004220: D3F300AC 1EB27178
	v_mfma_f32_16x16x32_fp8_fp8 v[172:175], a[122:123], a[58:59], v[172:175]// 000000004228: D3F300AC 1EB2757A
	v_mfma_f32_16x16x32_fp8_fp8 v[172:175], a[124:125], a[60:61], v[172:175]// 000000004230: D3F300AC 1EB2797C
	v_mfma_f32_16x16x32_fp8_fp8 v[172:175], a[126:127], a[62:63], v[172:175]// 000000004238: D3F300AC 1EB27D7E
	v_mfma_f32_16x16x32_fp8_fp8 v[192:195], a[128:129], a[56:57], v[192:195]// 000000004240: D3F300C0 1F027180
	v_mfma_f32_16x16x32_fp8_fp8 v[192:195], a[130:131], a[58:59], v[192:195]// 000000004248: D3F300C0 1F027582
	v_mfma_f32_16x16x32_fp8_fp8 v[192:195], a[132:133], a[60:61], v[192:195]// 000000004250: D3F300C0 1F027984
	v_mfma_f32_16x16x32_fp8_fp8 v[192:195], a[134:135], a[62:63], v[192:195]// 000000004258: D3F300C0 1F027D86
	v_mfma_f32_16x16x32_fp8_fp8 v[212:215], a[136:137], a[56:57], v[212:215]// 000000004260: D3F300D4 1F527188
	v_mfma_f32_16x16x32_fp8_fp8 v[212:215], a[138:139], a[58:59], v[212:215]// 000000004268: D3F300D4 1F52758A
	v_mfma_f32_16x16x32_fp8_fp8 v[212:215], a[140:141], a[60:61], v[212:215]// 000000004270: D3F300D4 1F52798C
	v_mfma_f32_16x16x32_fp8_fp8 v[212:215], a[142:143], a[62:63], v[212:215]// 000000004278: D3F300D4 1F527D8E
	v_mfma_f32_16x16x32_fp8_fp8 v[156:159], a[112:113], a[64:65], v[156:159]// 000000004280: D3F3009C 1E728170
	v_mfma_f32_16x16x32_fp8_fp8 v[156:159], a[114:115], a[66:67], v[156:159]// 000000004288: D3F3009C 1E728572
	v_mfma_f32_16x16x32_fp8_fp8 v[156:159], a[116:117], a[68:69], v[156:159]// 000000004290: D3F3009C 1E728974
	v_mfma_f32_16x16x32_fp8_fp8 v[156:159], a[118:119], a[70:71], v[156:159]// 000000004298: D3F3009C 1E728D76
	v_mfma_f32_16x16x32_fp8_fp8 v[176:179], a[120:121], a[64:65], v[176:179]// 0000000042A0: D3F300B0 1EC28178
	v_mfma_f32_16x16x32_fp8_fp8 v[176:179], a[122:123], a[66:67], v[176:179]// 0000000042A8: D3F300B0 1EC2857A
	v_mfma_f32_16x16x32_fp8_fp8 v[176:179], a[124:125], a[68:69], v[176:179]// 0000000042B0: D3F300B0 1EC2897C
	v_mfma_f32_16x16x32_fp8_fp8 v[176:179], a[126:127], a[70:71], v[176:179]// 0000000042B8: D3F300B0 1EC28D7E
	v_mfma_f32_16x16x32_fp8_fp8 v[196:199], a[128:129], a[64:65], v[196:199]// 0000000042C0: D3F300C4 1F128180
	v_mfma_f32_16x16x32_fp8_fp8 v[196:199], a[130:131], a[66:67], v[196:199]// 0000000042C8: D3F300C4 1F128582
	v_mfma_f32_16x16x32_fp8_fp8 v[196:199], a[132:133], a[68:69], v[196:199]// 0000000042D0: D3F300C4 1F128984
	v_mfma_f32_16x16x32_fp8_fp8 v[196:199], a[134:135], a[70:71], v[196:199]// 0000000042D8: D3F300C4 1F128D86
	v_mfma_f32_16x16x32_fp8_fp8 v[216:219], a[136:137], a[64:65], v[216:219]// 0000000042E0: D3F300D8 1F628188
	v_mfma_f32_16x16x32_fp8_fp8 v[216:219], a[138:139], a[66:67], v[216:219]// 0000000042E8: D3F300D8 1F62858A
	v_mfma_f32_16x16x32_fp8_fp8 v[216:219], a[140:141], a[68:69], v[216:219]// 0000000042F0: D3F300D8 1F62898C
	v_mfma_f32_16x16x32_fp8_fp8 v[216:219], a[142:143], a[70:71], v[216:219]// 0000000042F8: D3F300D8 1F628D8E
	v_mfma_f32_16x16x32_fp8_fp8 v[160:163], a[112:113], a[72:73], v[160:163]// 000000004300: D3F300A0 1E829170
	v_mfma_f32_16x16x32_fp8_fp8 v[160:163], a[114:115], a[74:75], v[160:163]// 000000004308: D3F300A0 1E829572
	v_mfma_f32_16x16x32_fp8_fp8 v[160:163], a[116:117], a[76:77], v[160:163]// 000000004310: D3F300A0 1E829974
	v_mfma_f32_16x16x32_fp8_fp8 v[160:163], a[118:119], a[78:79], v[160:163]// 000000004318: D3F300A0 1E829D76
	v_mfma_f32_16x16x32_fp8_fp8 v[180:183], a[120:121], a[72:73], v[180:183]// 000000004320: D3F300B4 1ED29178
	v_mfma_f32_16x16x32_fp8_fp8 v[180:183], a[122:123], a[74:75], v[180:183]// 000000004328: D3F300B4 1ED2957A
	v_mfma_f32_16x16x32_fp8_fp8 v[180:183], a[124:125], a[76:77], v[180:183]// 000000004330: D3F300B4 1ED2997C
	v_mfma_f32_16x16x32_fp8_fp8 v[180:183], a[126:127], a[78:79], v[180:183]// 000000004338: D3F300B4 1ED29D7E
	v_mfma_f32_16x16x32_fp8_fp8 v[200:203], a[128:129], a[72:73], v[200:203]// 000000004340: D3F300C8 1F229180
	v_mfma_f32_16x16x32_fp8_fp8 v[200:203], a[130:131], a[74:75], v[200:203]// 000000004348: D3F300C8 1F229582
	v_mfma_f32_16x16x32_fp8_fp8 v[200:203], a[132:133], a[76:77], v[200:203]// 000000004350: D3F300C8 1F229984
	s_add_u32 s60, 0x180, s80                                  // 000000004358: 803C50FF 00000180
	s_cmp_lt_u32 s60, s81                                      // 000000004360: BF0A513C
	s_cselect_b32 s57, s57, 0                                  // 000000004364: 85398039
	v_mfma_f32_16x16x32_fp8_fp8 v[200:203], a[134:135], a[78:79], v[200:203]// 000000004368: D3F300C8 1F229D86
	s_add_u32 s60, 0x100, s80                                  // 000000004370: 803C50FF 00000100
	s_cmp_lt_u32 s60, s81                                      // 000000004378: BF0A513C
	s_cselect_b32 s58, s58, 0                                  // 00000000437C: 853A803A
	v_mfma_f32_16x16x32_fp8_fp8 v[220:223], a[136:137], a[72:73], v[220:223]// 000000004380: D3F300DC 1F729188
	s_add_u32 s24, s58, s24                                    // 000000004388: 8018183A
	s_addc_u32 s25, 0, s25                                     // 00000000438C: 82191980
	v_mfma_f32_16x16x32_fp8_fp8 v[220:223], a[138:139], a[74:75], v[220:223]// 000000004390: D3F300DC 1F72958A
	s_add_u32 s20, s57, s20                                    // 000000004398: 80141439
	s_addc_u32 s21, 0, s21                                     // 00000000439C: 82151580
	v_mfma_f32_16x16x32_fp8_fp8 v[220:223], a[140:141], a[76:77], v[220:223]// 0000000043A0: D3F300DC 1F72998C
	s_add_u32 s84, s83, s84                                    // 0000000043A8: 80545453
	s_addc_u32 s85, 0, s85                                     // 0000000043AC: 82555580
	v_mfma_f32_16x16x32_fp8_fp8 v[220:223], a[142:143], a[78:79], v[220:223]// 0000000043B0: D3F300DC 1F729D8E
	s_addk_i32 s80, 0x80                                       // 0000000043B8: B7500080
	s_cmp_lt_i32 s80, s81                                      // 0000000043BC: BF045150
	s_cbranch_scc0 label_0672                                  // 0000000043C0: BF840001
	s_branch label_0305                                        // 0000000043C4: BF82FC93

00000000000043c8 <label_0672>:
	v_mul_f32_dpp v64, v24, v64 row_newbcast:0 row_mask:0xf bank_mask:0xf// 0000000043C8: 0A8080FA FF015018
	v_mul_f32_dpp v65, v24, v65 row_newbcast:1 row_mask:0xf bank_mask:0xf// 0000000043D0: 0A8282FA FF015118
	v_mul_f32_dpp v66, v24, v66 row_newbcast:2 row_mask:0xf bank_mask:0xf// 0000000043D8: 0A8484FA FF015218
	v_mul_f32_dpp v67, v24, v67 row_newbcast:3 row_mask:0xf bank_mask:0xf// 0000000043E0: 0A8686FA FF015318
	v_mul_f32_dpp v68, v24, v68 row_newbcast:0 row_mask:0xf bank_mask:0xf// 0000000043E8: 0A8888FA FF015018
	v_mul_f32_dpp v69, v24, v69 row_newbcast:1 row_mask:0xf bank_mask:0xf// 0000000043F0: 0A8A8AFA FF015118
	v_mul_f32_dpp v70, v24, v70 row_newbcast:2 row_mask:0xf bank_mask:0xf// 0000000043F8: 0A8C8CFA FF015218
	v_mul_f32_dpp v71, v24, v71 row_newbcast:3 row_mask:0xf bank_mask:0xf// 000000004400: 0A8E8EFA FF015318
	v_mul_f32_dpp v72, v24, v72 row_newbcast:0 row_mask:0xf bank_mask:0xf// 000000004408: 0A9090FA FF015018
	v_mul_f32_dpp v73, v24, v73 row_newbcast:1 row_mask:0xf bank_mask:0xf// 000000004410: 0A9292FA FF015118
	v_mul_f32_dpp v74, v24, v74 row_newbcast:2 row_mask:0xf bank_mask:0xf// 000000004418: 0A9494FA FF015218
	v_mul_f32_dpp v75, v24, v75 row_newbcast:3 row_mask:0xf bank_mask:0xf// 000000004420: 0A9696FA FF015318
	v_mul_f32_dpp v76, v24, v76 row_newbcast:0 row_mask:0xf bank_mask:0xf// 000000004428: 0A9898FA FF015018
	v_mul_f32_dpp v77, v24, v77 row_newbcast:1 row_mask:0xf bank_mask:0xf// 000000004430: 0A9A9AFA FF015118
	v_mul_f32_dpp v78, v24, v78 row_newbcast:2 row_mask:0xf bank_mask:0xf// 000000004438: 0A9C9CFA FF015218
	v_mul_f32_dpp v79, v24, v79 row_newbcast:3 row_mask:0xf bank_mask:0xf// 000000004440: 0A9E9EFA FF015318
	v_mul_f32_dpp v80, v24, v80 row_newbcast:0 row_mask:0xf bank_mask:0xf// 000000004448: 0AA0A0FA FF015018
	v_mul_f32_dpp v81, v24, v81 row_newbcast:1 row_mask:0xf bank_mask:0xf// 000000004450: 0AA2A2FA FF015118
	v_mul_f32_dpp v82, v24, v82 row_newbcast:2 row_mask:0xf bank_mask:0xf// 000000004458: 0AA4A4FA FF015218
	v_mul_f32_dpp v83, v24, v83 row_newbcast:3 row_mask:0xf bank_mask:0xf// 000000004460: 0AA6A6FA FF015318
	v_mul_f32_dpp v84, v24, v84 row_newbcast:4 row_mask:0xf bank_mask:0xf// 000000004468: 0AA8A8FA FF015418
	v_mul_f32_dpp v85, v24, v85 row_newbcast:5 row_mask:0xf bank_mask:0xf// 000000004470: 0AAAAAFA FF015518
	v_mul_f32_dpp v86, v24, v86 row_newbcast:6 row_mask:0xf bank_mask:0xf// 000000004478: 0AACACFA FF015618
	v_mul_f32_dpp v87, v24, v87 row_newbcast:7 row_mask:0xf bank_mask:0xf// 000000004480: 0AAEAEFA FF015718
	v_mul_f32_dpp v88, v24, v88 row_newbcast:4 row_mask:0xf bank_mask:0xf// 000000004488: 0AB0B0FA FF015418
	v_mul_f32_dpp v89, v24, v89 row_newbcast:5 row_mask:0xf bank_mask:0xf// 000000004490: 0AB2B2FA FF015518
	v_mul_f32_dpp v90, v24, v90 row_newbcast:6 row_mask:0xf bank_mask:0xf// 000000004498: 0AB4B4FA FF015618
	v_mul_f32_dpp v91, v24, v91 row_newbcast:7 row_mask:0xf bank_mask:0xf// 0000000044A0: 0AB6B6FA FF015718
	v_mul_f32_dpp v92, v24, v92 row_newbcast:4 row_mask:0xf bank_mask:0xf// 0000000044A8: 0AB8B8FA FF015418
	v_mul_f32_dpp v93, v24, v93 row_newbcast:5 row_mask:0xf bank_mask:0xf// 0000000044B0: 0ABABAFA FF015518
	v_mul_f32_dpp v94, v24, v94 row_newbcast:6 row_mask:0xf bank_mask:0xf// 0000000044B8: 0ABCBCFA FF015618
	v_mul_f32_dpp v95, v24, v95 row_newbcast:7 row_mask:0xf bank_mask:0xf// 0000000044C0: 0ABEBEFA FF015718
	v_mul_f32_dpp v96, v24, v96 row_newbcast:4 row_mask:0xf bank_mask:0xf// 0000000044C8: 0AC0C0FA FF015418
	v_mul_f32_dpp v97, v24, v97 row_newbcast:5 row_mask:0xf bank_mask:0xf// 0000000044D0: 0AC2C2FA FF015518
	v_mul_f32_dpp v98, v24, v98 row_newbcast:6 row_mask:0xf bank_mask:0xf// 0000000044D8: 0AC4C4FA FF015618
	v_mul_f32_dpp v99, v24, v99 row_newbcast:7 row_mask:0xf bank_mask:0xf// 0000000044E0: 0AC6C6FA FF015718
	v_mul_f32_dpp v100, v24, v100 row_newbcast:4 row_mask:0xf bank_mask:0xf// 0000000044E8: 0AC8C8FA FF015418
	v_mul_f32_dpp v101, v24, v101 row_newbcast:5 row_mask:0xf bank_mask:0xf// 0000000044F0: 0ACACAFA FF015518
	v_mul_f32_dpp v102, v24, v102 row_newbcast:6 row_mask:0xf bank_mask:0xf// 0000000044F8: 0ACCCCFA FF015618
	v_mul_f32_dpp v103, v24, v103 row_newbcast:7 row_mask:0xf bank_mask:0xf// 000000004500: 0ACECEFA FF015718
	v_mul_f32_dpp v104, v24, v104 row_newbcast:8 row_mask:0xf bank_mask:0xf// 000000004508: 0AD0D0FA FF015818
	v_mul_f32_dpp v105, v24, v105 row_newbcast:9 row_mask:0xf bank_mask:0xf// 000000004510: 0AD2D2FA FF015918
	v_mul_f32_dpp v106, v24, v106 row_newbcast:10 row_mask:0xf bank_mask:0xf// 000000004518: 0AD4D4FA FF015A18
	v_mul_f32_dpp v107, v24, v107 row_newbcast:11 row_mask:0xf bank_mask:0xf// 000000004520: 0AD6D6FA FF015B18
	v_mul_f32_dpp v108, v24, v108 row_newbcast:8 row_mask:0xf bank_mask:0xf// 000000004528: 0AD8D8FA FF015818
	v_mul_f32_dpp v109, v24, v109 row_newbcast:9 row_mask:0xf bank_mask:0xf// 000000004530: 0ADADAFA FF015918
	v_mul_f32_dpp v110, v24, v110 row_newbcast:10 row_mask:0xf bank_mask:0xf// 000000004538: 0ADCDCFA FF015A18
	v_mul_f32_dpp v111, v24, v111 row_newbcast:11 row_mask:0xf bank_mask:0xf// 000000004540: 0ADEDEFA FF015B18
	v_mul_f32_dpp v112, v24, v112 row_newbcast:8 row_mask:0xf bank_mask:0xf// 000000004548: 0AE0E0FA FF015818
	v_mul_f32_dpp v113, v24, v113 row_newbcast:9 row_mask:0xf bank_mask:0xf// 000000004550: 0AE2E2FA FF015918
	v_mul_f32_dpp v114, v24, v114 row_newbcast:10 row_mask:0xf bank_mask:0xf// 000000004558: 0AE4E4FA FF015A18
	v_mul_f32_dpp v115, v24, v115 row_newbcast:11 row_mask:0xf bank_mask:0xf// 000000004560: 0AE6E6FA FF015B18
	v_mul_f32_dpp v116, v24, v116 row_newbcast:8 row_mask:0xf bank_mask:0xf// 000000004568: 0AE8E8FA FF015818
	v_mul_f32_dpp v117, v24, v117 row_newbcast:9 row_mask:0xf bank_mask:0xf// 000000004570: 0AEAEAFA FF015918
	v_mul_f32_dpp v118, v24, v118 row_newbcast:10 row_mask:0xf bank_mask:0xf// 000000004578: 0AECECFA FF015A18
	v_mul_f32_dpp v119, v24, v119 row_newbcast:11 row_mask:0xf bank_mask:0xf// 000000004580: 0AEEEEFA FF015B18
	v_mul_f32_dpp v120, v24, v120 row_newbcast:8 row_mask:0xf bank_mask:0xf// 000000004588: 0AF0F0FA FF015818
	v_mul_f32_dpp v121, v24, v121 row_newbcast:9 row_mask:0xf bank_mask:0xf// 000000004590: 0AF2F2FA FF015918
	v_mul_f32_dpp v122, v24, v122 row_newbcast:10 row_mask:0xf bank_mask:0xf// 000000004598: 0AF4F4FA FF015A18
	v_mul_f32_dpp v123, v24, v123 row_newbcast:11 row_mask:0xf bank_mask:0xf// 0000000045A0: 0AF6F6FA FF015B18
	v_mul_f32_dpp v124, v24, v124 row_newbcast:12 row_mask:0xf bank_mask:0xf// 0000000045A8: 0AF8F8FA FF015C18
	v_mul_f32_dpp v125, v24, v125 row_newbcast:13 row_mask:0xf bank_mask:0xf// 0000000045B0: 0AFAFAFA FF015D18
	v_mul_f32_dpp v126, v24, v126 row_newbcast:14 row_mask:0xf bank_mask:0xf// 0000000045B8: 0AFCFCFA FF015E18
	v_mul_f32_dpp v127, v24, v127 row_newbcast:15 row_mask:0xf bank_mask:0xf// 0000000045C0: 0AFEFEFA FF015F18
	v_mul_f32_dpp v128, v24, v128 row_newbcast:12 row_mask:0xf bank_mask:0xf// 0000000045C8: 0B0100FA FF015C18
	v_mul_f32_dpp v129, v24, v129 row_newbcast:13 row_mask:0xf bank_mask:0xf// 0000000045D0: 0B0302FA FF015D18
	v_mul_f32_dpp v130, v24, v130 row_newbcast:14 row_mask:0xf bank_mask:0xf// 0000000045D8: 0B0504FA FF015E18
	v_mul_f32_dpp v131, v24, v131 row_newbcast:15 row_mask:0xf bank_mask:0xf// 0000000045E0: 0B0706FA FF015F18
	v_mul_f32_dpp v132, v24, v132 row_newbcast:12 row_mask:0xf bank_mask:0xf// 0000000045E8: 0B0908FA FF015C18
	v_mul_f32_dpp v133, v24, v133 row_newbcast:13 row_mask:0xf bank_mask:0xf// 0000000045F0: 0B0B0AFA FF015D18
	v_mul_f32_dpp v134, v24, v134 row_newbcast:14 row_mask:0xf bank_mask:0xf// 0000000045F8: 0B0D0CFA FF015E18
	v_mul_f32_dpp v135, v24, v135 row_newbcast:15 row_mask:0xf bank_mask:0xf// 000000004600: 0B0F0EFA FF015F18
	v_mul_f32_dpp v136, v24, v136 row_newbcast:12 row_mask:0xf bank_mask:0xf// 000000004608: 0B1110FA FF015C18
	v_mul_f32_dpp v137, v24, v137 row_newbcast:13 row_mask:0xf bank_mask:0xf// 000000004610: 0B1312FA FF015D18
	v_mul_f32_dpp v138, v24, v138 row_newbcast:14 row_mask:0xf bank_mask:0xf// 000000004618: 0B1514FA FF015E18
	v_mul_f32_dpp v139, v24, v139 row_newbcast:15 row_mask:0xf bank_mask:0xf// 000000004620: 0B1716FA FF015F18
	v_mul_f32_dpp v140, v24, v140 row_newbcast:12 row_mask:0xf bank_mask:0xf// 000000004628: 0B1918FA FF015C18
	v_mul_f32_dpp v141, v24, v141 row_newbcast:13 row_mask:0xf bank_mask:0xf// 000000004630: 0B1B1AFA FF015D18
	v_mul_f32_dpp v142, v24, v142 row_newbcast:14 row_mask:0xf bank_mask:0xf// 000000004638: 0B1D1CFA FF015E18
	v_mul_f32_dpp v143, v24, v143 row_newbcast:15 row_mask:0xf bank_mask:0xf// 000000004640: 0B1F1EFA FF015F18
	v_mul_f32_dpp v144, v26, v144 row_newbcast:0 row_mask:0xf bank_mask:0xf// 000000004648: 0B2120FA FF01501A
	v_mul_f32_dpp v145, v26, v145 row_newbcast:1 row_mask:0xf bank_mask:0xf// 000000004650: 0B2322FA FF01511A
	v_mul_f32_dpp v146, v26, v146 row_newbcast:2 row_mask:0xf bank_mask:0xf// 000000004658: 0B2524FA FF01521A
	v_mul_f32_dpp v147, v26, v147 row_newbcast:3 row_mask:0xf bank_mask:0xf// 000000004660: 0B2726FA FF01531A
	v_mul_f32_dpp v148, v26, v148 row_newbcast:0 row_mask:0xf bank_mask:0xf// 000000004668: 0B2928FA FF01501A
	v_mul_f32_dpp v149, v26, v149 row_newbcast:1 row_mask:0xf bank_mask:0xf// 000000004670: 0B2B2AFA FF01511A
	v_mul_f32_dpp v150, v26, v150 row_newbcast:2 row_mask:0xf bank_mask:0xf// 000000004678: 0B2D2CFA FF01521A
	v_mul_f32_dpp v151, v26, v151 row_newbcast:3 row_mask:0xf bank_mask:0xf// 000000004680: 0B2F2EFA FF01531A
	v_mul_f32_dpp v152, v26, v152 row_newbcast:0 row_mask:0xf bank_mask:0xf// 000000004688: 0B3130FA FF01501A
	v_mul_f32_dpp v153, v26, v153 row_newbcast:1 row_mask:0xf bank_mask:0xf// 000000004690: 0B3332FA FF01511A
	v_mul_f32_dpp v154, v26, v154 row_newbcast:2 row_mask:0xf bank_mask:0xf// 000000004698: 0B3534FA FF01521A
	v_mul_f32_dpp v155, v26, v155 row_newbcast:3 row_mask:0xf bank_mask:0xf// 0000000046A0: 0B3736FA FF01531A
	v_mul_f32_dpp v156, v26, v156 row_newbcast:0 row_mask:0xf bank_mask:0xf// 0000000046A8: 0B3938FA FF01501A
	v_mul_f32_dpp v157, v26, v157 row_newbcast:1 row_mask:0xf bank_mask:0xf// 0000000046B0: 0B3B3AFA FF01511A
	v_mul_f32_dpp v158, v26, v158 row_newbcast:2 row_mask:0xf bank_mask:0xf// 0000000046B8: 0B3D3CFA FF01521A
	v_mul_f32_dpp v159, v26, v159 row_newbcast:3 row_mask:0xf bank_mask:0xf// 0000000046C0: 0B3F3EFA FF01531A
	v_mul_f32_dpp v160, v26, v160 row_newbcast:0 row_mask:0xf bank_mask:0xf// 0000000046C8: 0B4140FA FF01501A
	v_mul_f32_dpp v161, v26, v161 row_newbcast:1 row_mask:0xf bank_mask:0xf// 0000000046D0: 0B4342FA FF01511A
	v_mul_f32_dpp v162, v26, v162 row_newbcast:2 row_mask:0xf bank_mask:0xf// 0000000046D8: 0B4544FA FF01521A
	v_mul_f32_dpp v163, v26, v163 row_newbcast:3 row_mask:0xf bank_mask:0xf// 0000000046E0: 0B4746FA FF01531A
	v_mul_f32_dpp v164, v26, v164 row_newbcast:4 row_mask:0xf bank_mask:0xf// 0000000046E8: 0B4948FA FF01541A
	v_mul_f32_dpp v165, v26, v165 row_newbcast:5 row_mask:0xf bank_mask:0xf// 0000000046F0: 0B4B4AFA FF01551A
	v_mul_f32_dpp v166, v26, v166 row_newbcast:6 row_mask:0xf bank_mask:0xf// 0000000046F8: 0B4D4CFA FF01561A
	v_mul_f32_dpp v167, v26, v167 row_newbcast:7 row_mask:0xf bank_mask:0xf// 000000004700: 0B4F4EFA FF01571A
	v_mul_f32_dpp v168, v26, v168 row_newbcast:4 row_mask:0xf bank_mask:0xf// 000000004708: 0B5150FA FF01541A
	v_mul_f32_dpp v169, v26, v169 row_newbcast:5 row_mask:0xf bank_mask:0xf// 000000004710: 0B5352FA FF01551A
	v_mul_f32_dpp v170, v26, v170 row_newbcast:6 row_mask:0xf bank_mask:0xf// 000000004718: 0B5554FA FF01561A
	v_mul_f32_dpp v171, v26, v171 row_newbcast:7 row_mask:0xf bank_mask:0xf// 000000004720: 0B5756FA FF01571A
	v_mul_f32_dpp v172, v26, v172 row_newbcast:4 row_mask:0xf bank_mask:0xf// 000000004728: 0B5958FA FF01541A
	v_mul_f32_dpp v173, v26, v173 row_newbcast:5 row_mask:0xf bank_mask:0xf// 000000004730: 0B5B5AFA FF01551A
	v_mul_f32_dpp v174, v26, v174 row_newbcast:6 row_mask:0xf bank_mask:0xf// 000000004738: 0B5D5CFA FF01561A
	v_mul_f32_dpp v175, v26, v175 row_newbcast:7 row_mask:0xf bank_mask:0xf// 000000004740: 0B5F5EFA FF01571A
	v_mul_f32_dpp v176, v26, v176 row_newbcast:4 row_mask:0xf bank_mask:0xf// 000000004748: 0B6160FA FF01541A
	v_mul_f32_dpp v177, v26, v177 row_newbcast:5 row_mask:0xf bank_mask:0xf// 000000004750: 0B6362FA FF01551A
	v_mul_f32_dpp v178, v26, v178 row_newbcast:6 row_mask:0xf bank_mask:0xf// 000000004758: 0B6564FA FF01561A
	v_mul_f32_dpp v179, v26, v179 row_newbcast:7 row_mask:0xf bank_mask:0xf// 000000004760: 0B6766FA FF01571A
	v_mul_f32_dpp v180, v26, v180 row_newbcast:4 row_mask:0xf bank_mask:0xf// 000000004768: 0B6968FA FF01541A
	v_mul_f32_dpp v181, v26, v181 row_newbcast:5 row_mask:0xf bank_mask:0xf// 000000004770: 0B6B6AFA FF01551A
	v_mul_f32_dpp v182, v26, v182 row_newbcast:6 row_mask:0xf bank_mask:0xf// 000000004778: 0B6D6CFA FF01561A
	v_mul_f32_dpp v183, v26, v183 row_newbcast:7 row_mask:0xf bank_mask:0xf// 000000004780: 0B6F6EFA FF01571A
	v_mul_f32_dpp v184, v26, v184 row_newbcast:8 row_mask:0xf bank_mask:0xf// 000000004788: 0B7170FA FF01581A
	v_mul_f32_dpp v185, v26, v185 row_newbcast:9 row_mask:0xf bank_mask:0xf// 000000004790: 0B7372FA FF01591A
	v_mul_f32_dpp v186, v26, v186 row_newbcast:10 row_mask:0xf bank_mask:0xf// 000000004798: 0B7574FA FF015A1A
	v_mul_f32_dpp v187, v26, v187 row_newbcast:11 row_mask:0xf bank_mask:0xf// 0000000047A0: 0B7776FA FF015B1A
	v_mul_f32_dpp v188, v26, v188 row_newbcast:8 row_mask:0xf bank_mask:0xf// 0000000047A8: 0B7978FA FF01581A
	v_mul_f32_dpp v189, v26, v189 row_newbcast:9 row_mask:0xf bank_mask:0xf// 0000000047B0: 0B7B7AFA FF01591A
	v_mul_f32_dpp v190, v26, v190 row_newbcast:10 row_mask:0xf bank_mask:0xf// 0000000047B8: 0B7D7CFA FF015A1A
	v_mul_f32_dpp v191, v26, v191 row_newbcast:11 row_mask:0xf bank_mask:0xf// 0000000047C0: 0B7F7EFA FF015B1A
	v_mul_f32_dpp v192, v26, v192 row_newbcast:8 row_mask:0xf bank_mask:0xf// 0000000047C8: 0B8180FA FF01581A
	v_mul_f32_dpp v193, v26, v193 row_newbcast:9 row_mask:0xf bank_mask:0xf// 0000000047D0: 0B8382FA FF01591A
	v_mul_f32_dpp v194, v26, v194 row_newbcast:10 row_mask:0xf bank_mask:0xf// 0000000047D8: 0B8584FA FF015A1A
	v_mul_f32_dpp v195, v26, v195 row_newbcast:11 row_mask:0xf bank_mask:0xf// 0000000047E0: 0B8786FA FF015B1A
	v_mul_f32_dpp v196, v26, v196 row_newbcast:8 row_mask:0xf bank_mask:0xf// 0000000047E8: 0B8988FA FF01581A
	v_mul_f32_dpp v197, v26, v197 row_newbcast:9 row_mask:0xf bank_mask:0xf// 0000000047F0: 0B8B8AFA FF01591A
	v_mul_f32_dpp v198, v26, v198 row_newbcast:10 row_mask:0xf bank_mask:0xf// 0000000047F8: 0B8D8CFA FF015A1A
	v_mul_f32_dpp v199, v26, v199 row_newbcast:11 row_mask:0xf bank_mask:0xf// 000000004800: 0B8F8EFA FF015B1A
	v_mul_f32_dpp v200, v26, v200 row_newbcast:8 row_mask:0xf bank_mask:0xf// 000000004808: 0B9190FA FF01581A
	v_mul_f32_dpp v201, v26, v201 row_newbcast:9 row_mask:0xf bank_mask:0xf// 000000004810: 0B9392FA FF01591A
	v_mul_f32_dpp v202, v26, v202 row_newbcast:10 row_mask:0xf bank_mask:0xf// 000000004818: 0B9594FA FF015A1A
	v_mul_f32_dpp v203, v26, v203 row_newbcast:11 row_mask:0xf bank_mask:0xf// 000000004820: 0B9796FA FF015B1A
	v_mul_f32_dpp v204, v26, v204 row_newbcast:12 row_mask:0xf bank_mask:0xf// 000000004828: 0B9998FA FF015C1A
	v_mul_f32_dpp v205, v26, v205 row_newbcast:13 row_mask:0xf bank_mask:0xf// 000000004830: 0B9B9AFA FF015D1A
	v_mul_f32_dpp v206, v26, v206 row_newbcast:14 row_mask:0xf bank_mask:0xf// 000000004838: 0B9D9CFA FF015E1A
	v_mul_f32_dpp v207, v26, v207 row_newbcast:15 row_mask:0xf bank_mask:0xf// 000000004840: 0B9F9EFA FF015F1A
	v_mul_f32_dpp v208, v26, v208 row_newbcast:12 row_mask:0xf bank_mask:0xf// 000000004848: 0BA1A0FA FF015C1A
	v_mul_f32_dpp v209, v26, v209 row_newbcast:13 row_mask:0xf bank_mask:0xf// 000000004850: 0BA3A2FA FF015D1A
	v_mul_f32_dpp v210, v26, v210 row_newbcast:14 row_mask:0xf bank_mask:0xf// 000000004858: 0BA5A4FA FF015E1A
	v_mul_f32_dpp v211, v26, v211 row_newbcast:15 row_mask:0xf bank_mask:0xf// 000000004860: 0BA7A6FA FF015F1A
	v_mul_f32_dpp v212, v26, v212 row_newbcast:12 row_mask:0xf bank_mask:0xf// 000000004868: 0BA9A8FA FF015C1A
	v_mul_f32_dpp v213, v26, v213 row_newbcast:13 row_mask:0xf bank_mask:0xf// 000000004870: 0BABAAFA FF015D1A
	v_mul_f32_dpp v214, v26, v214 row_newbcast:14 row_mask:0xf bank_mask:0xf// 000000004878: 0BADACFA FF015E1A
	v_mul_f32_dpp v215, v26, v215 row_newbcast:15 row_mask:0xf bank_mask:0xf// 000000004880: 0BAFAEFA FF015F1A
	v_mul_f32_dpp v216, v26, v216 row_newbcast:12 row_mask:0xf bank_mask:0xf// 000000004888: 0BB1B0FA FF015C1A
	v_mul_f32_dpp v217, v26, v217 row_newbcast:13 row_mask:0xf bank_mask:0xf// 000000004890: 0BB3B2FA FF015D1A
	v_mul_f32_dpp v218, v26, v218 row_newbcast:14 row_mask:0xf bank_mask:0xf// 000000004898: 0BB5B4FA FF015E1A
	v_mul_f32_dpp v219, v26, v219 row_newbcast:15 row_mask:0xf bank_mask:0xf// 0000000048A0: 0BB7B6FA FF015F1A
	v_mul_f32_dpp v220, v26, v220 row_newbcast:12 row_mask:0xf bank_mask:0xf// 0000000048A8: 0BB9B8FA FF015C1A
	v_mul_f32_dpp v221, v26, v221 row_newbcast:13 row_mask:0xf bank_mask:0xf// 0000000048B0: 0BBBBAFA FF015D1A
	v_mul_f32_dpp v222, v26, v222 row_newbcast:14 row_mask:0xf bank_mask:0xf// 0000000048B8: 0BBDBCFA FF015E1A
	v_mul_f32_dpp v223, v26, v223 row_newbcast:15 row_mask:0xf bank_mask:0xf// 0000000048C0: 0BBFBEFA FF015F1A
	v_mov_b32_e32 v4, v33                                      // 0000000048C8: 7E080321
	v_mov_b32_e32 v5, v4                                       // 0000000048CC: 7E0A0304
	v_pk_mul_f32 v[64:65], v[4:5], v[64:65]                    // 0000000048D0: D3B14040 18028104
	v_pk_mul_f32 v[144:145], v[4:5], v[144:145]                // 0000000048D8: D3B14090 18032104
	v_pk_mul_f32 v[66:67], v[4:5], v[66:67]                    // 0000000048E0: D3B14042 18028504
	v_pk_mul_f32 v[146:147], v[4:5], v[146:147]                // 0000000048E8: D3B14092 18032504
	v_pk_mul_f32 v[84:85], v[4:5], v[84:85]                    // 0000000048F0: D3B14054 1802A904
	v_pk_mul_f32 v[164:165], v[4:5], v[164:165]                // 0000000048F8: D3B140A4 18034904
	v_pk_mul_f32 v[86:87], v[4:5], v[86:87]                    // 000000004900: D3B14056 1802AD04
	v_pk_mul_f32 v[166:167], v[4:5], v[166:167]                // 000000004908: D3B140A6 18034D04
	v_pk_mul_f32 v[104:105], v[4:5], v[104:105]                // 000000004910: D3B14068 1802D104
	v_pk_mul_f32 v[184:185], v[4:5], v[184:185]                // 000000004918: D3B140B8 18037104
	v_pk_mul_f32 v[106:107], v[4:5], v[106:107]                // 000000004920: D3B1406A 1802D504
	v_pk_mul_f32 v[186:187], v[4:5], v[186:187]                // 000000004928: D3B140BA 18037504
	v_pk_mul_f32 v[124:125], v[4:5], v[124:125]                // 000000004930: D3B1407C 1802F904
	v_pk_mul_f32 v[204:205], v[4:5], v[204:205]                // 000000004938: D3B140CC 18039904
	v_pk_mul_f32 v[126:127], v[4:5], v[126:127]                // 000000004940: D3B1407E 1802FD04
	v_pk_mul_f32 v[206:207], v[4:5], v[206:207]                // 000000004948: D3B140CE 18039D04
	v_mov_b32_e32 v4, v34                                      // 000000004950: 7E080322
	v_mov_b32_e32 v5, v4                                       // 000000004954: 7E0A0304
	v_pk_mul_f32 v[68:69], v[4:5], v[68:69]                    // 000000004958: D3B14044 18028904
	v_pk_mul_f32 v[148:149], v[4:5], v[148:149]                // 000000004960: D3B14094 18032904
	v_pk_mul_f32 v[70:71], v[4:5], v[70:71]                    // 000000004968: D3B14046 18028D04
	v_pk_mul_f32 v[150:151], v[4:5], v[150:151]                // 000000004970: D3B14096 18032D04
	v_pk_mul_f32 v[88:89], v[4:5], v[88:89]                    // 000000004978: D3B14058 1802B104
	v_pk_mul_f32 v[168:169], v[4:5], v[168:169]                // 000000004980: D3B140A8 18035104
	v_pk_mul_f32 v[90:91], v[4:5], v[90:91]                    // 000000004988: D3B1405A 1802B504
	v_pk_mul_f32 v[170:171], v[4:5], v[170:171]                // 000000004990: D3B140AA 18035504
	v_pk_mul_f32 v[108:109], v[4:5], v[108:109]                // 000000004998: D3B1406C 1802D904
	v_pk_mul_f32 v[188:189], v[4:5], v[188:189]                // 0000000049A0: D3B140BC 18037904
	v_pk_mul_f32 v[110:111], v[4:5], v[110:111]                // 0000000049A8: D3B1406E 1802DD04
	v_pk_mul_f32 v[190:191], v[4:5], v[190:191]                // 0000000049B0: D3B140BE 18037D04
	v_pk_mul_f32 v[128:129], v[4:5], v[128:129]                // 0000000049B8: D3B14080 18030104
	v_pk_mul_f32 v[208:209], v[4:5], v[208:209]                // 0000000049C0: D3B140D0 1803A104
	v_pk_mul_f32 v[130:131], v[4:5], v[130:131]                // 0000000049C8: D3B14082 18030504
	v_pk_mul_f32 v[210:211], v[4:5], v[210:211]                // 0000000049D0: D3B140D2 1803A504
	v_mov_b32_e32 v4, v35                                      // 0000000049D8: 7E080323
	v_mov_b32_e32 v5, v4                                       // 0000000049DC: 7E0A0304
	v_pk_mul_f32 v[72:73], v[4:5], v[72:73]                    // 0000000049E0: D3B14048 18029104
	v_pk_mul_f32 v[152:153], v[4:5], v[152:153]                // 0000000049E8: D3B14098 18033104
	v_pk_mul_f32 v[74:75], v[4:5], v[74:75]                    // 0000000049F0: D3B1404A 18029504
	v_pk_mul_f32 v[154:155], v[4:5], v[154:155]                // 0000000049F8: D3B1409A 18033504
	v_pk_mul_f32 v[92:93], v[4:5], v[92:93]                    // 000000004A00: D3B1405C 1802B904
	v_pk_mul_f32 v[172:173], v[4:5], v[172:173]                // 000000004A08: D3B140AC 18035904
	v_pk_mul_f32 v[94:95], v[4:5], v[94:95]                    // 000000004A10: D3B1405E 1802BD04
	v_pk_mul_f32 v[174:175], v[4:5], v[174:175]                // 000000004A18: D3B140AE 18035D04
	v_pk_mul_f32 v[112:113], v[4:5], v[112:113]                // 000000004A20: D3B14070 1802E104
	v_pk_mul_f32 v[192:193], v[4:5], v[192:193]                // 000000004A28: D3B140C0 18038104
	v_pk_mul_f32 v[114:115], v[4:5], v[114:115]                // 000000004A30: D3B14072 1802E504
	v_pk_mul_f32 v[194:195], v[4:5], v[194:195]                // 000000004A38: D3B140C2 18038504
	v_pk_mul_f32 v[132:133], v[4:5], v[132:133]                // 000000004A40: D3B14084 18030904
	v_pk_mul_f32 v[212:213], v[4:5], v[212:213]                // 000000004A48: D3B140D4 1803A904
	v_pk_mul_f32 v[134:135], v[4:5], v[134:135]                // 000000004A50: D3B14086 18030D04
	v_pk_mul_f32 v[214:215], v[4:5], v[214:215]                // 000000004A58: D3B140D6 1803AD04
	v_mov_b32_e32 v4, v36                                      // 000000004A60: 7E080324
	v_mov_b32_e32 v5, v4                                       // 000000004A64: 7E0A0304
	v_pk_mul_f32 v[76:77], v[4:5], v[76:77]                    // 000000004A68: D3B1404C 18029904
	v_pk_mul_f32 v[156:157], v[4:5], v[156:157]                // 000000004A70: D3B1409C 18033904
	v_pk_mul_f32 v[78:79], v[4:5], v[78:79]                    // 000000004A78: D3B1404E 18029D04
	v_pk_mul_f32 v[158:159], v[4:5], v[158:159]                // 000000004A80: D3B1409E 18033D04
	v_pk_mul_f32 v[96:97], v[4:5], v[96:97]                    // 000000004A88: D3B14060 1802C104
	v_pk_mul_f32 v[176:177], v[4:5], v[176:177]                // 000000004A90: D3B140B0 18036104
	v_pk_mul_f32 v[98:99], v[4:5], v[98:99]                    // 000000004A98: D3B14062 1802C504
	v_pk_mul_f32 v[178:179], v[4:5], v[178:179]                // 000000004AA0: D3B140B2 18036504
	v_pk_mul_f32 v[116:117], v[4:5], v[116:117]                // 000000004AA8: D3B14074 1802E904
	v_pk_mul_f32 v[196:197], v[4:5], v[196:197]                // 000000004AB0: D3B140C4 18038904
	v_pk_mul_f32 v[118:119], v[4:5], v[118:119]                // 000000004AB8: D3B14076 1802ED04
	v_pk_mul_f32 v[198:199], v[4:5], v[198:199]                // 000000004AC0: D3B140C6 18038D04
	v_pk_mul_f32 v[136:137], v[4:5], v[136:137]                // 000000004AC8: D3B14088 18031104
	v_pk_mul_f32 v[216:217], v[4:5], v[216:217]                // 000000004AD0: D3B140D8 1803B104
	v_pk_mul_f32 v[138:139], v[4:5], v[138:139]                // 000000004AD8: D3B1408A 18031504
	v_pk_mul_f32 v[218:219], v[4:5], v[218:219]                // 000000004AE0: D3B140DA 1803B504
	v_mov_b32_e32 v4, v37                                      // 000000004AE8: 7E080325
	v_mov_b32_e32 v5, v4                                       // 000000004AEC: 7E0A0304
	v_pk_mul_f32 v[80:81], v[4:5], v[80:81]                    // 000000004AF0: D3B14050 1802A104
	v_pk_mul_f32 v[160:161], v[4:5], v[160:161]                // 000000004AF8: D3B140A0 18034104
	v_pk_mul_f32 v[82:83], v[4:5], v[82:83]                    // 000000004B00: D3B14052 1802A504
	v_pk_mul_f32 v[162:163], v[4:5], v[162:163]                // 000000004B08: D3B140A2 18034504
	v_pk_mul_f32 v[100:101], v[4:5], v[100:101]                // 000000004B10: D3B14064 1802C904
	v_pk_mul_f32 v[180:181], v[4:5], v[180:181]                // 000000004B18: D3B140B4 18036904
	v_pk_mul_f32 v[102:103], v[4:5], v[102:103]                // 000000004B20: D3B14066 1802CD04
	v_pk_mul_f32 v[182:183], v[4:5], v[182:183]                // 000000004B28: D3B140B6 18036D04
	v_pk_mul_f32 v[120:121], v[4:5], v[120:121]                // 000000004B30: D3B14078 1802F104
	v_pk_mul_f32 v[200:201], v[4:5], v[200:201]                // 000000004B38: D3B140C8 18039104
	v_pk_mul_f32 v[122:123], v[4:5], v[122:123]                // 000000004B40: D3B1407A 1802F504
	v_pk_mul_f32 v[202:203], v[4:5], v[202:203]                // 000000004B48: D3B140CA 18039504
	v_pk_mul_f32 v[140:141], v[4:5], v[140:141]                // 000000004B50: D3B1408C 18031904
	v_pk_mul_f32 v[220:221], v[4:5], v[220:221]                // 000000004B58: D3B140DC 1803B904
	v_pk_mul_f32 v[142:143], v[4:5], v[142:143]                // 000000004B60: D3B1408E 18031D04
	v_pk_mul_f32 v[222:223], v[4:5], v[222:223]                // 000000004B68: D3B140DE 1803BD04
	s_cmp_eq_u32 s88, 0                                        // 000000004B70: BF068058
	s_cbranch_scc0 label_1293                                  // 000000004B74: BF840A35
	s_cmp_eq_u32 s89, 0                                        // 000000004B78: BF068059
	s_cbranch_scc1 label_0B85                                  // 000000004B7C: BF850325
	v_mov_b32_e32 v8, v1                                       // 000000004B80: 7E100301
	v_mov_b32_e32 v9, v1                                       // 000000004B84: 7E120301
	s_mov_b32 s60, s6                                          // 000000004B88: BEBC0006
	s_mov_b32 s61, s6                                          // 000000004B8C: BEBD0006
	v_pk_mul_f32 v[4:5], v[64:65], v[64:65]                    // 000000004B90: D3B14004 18028140
	v_pk_mul_f32 v[6:7], v[66:67], v[66:67]                    // 000000004B98: D3B14006 18028542
	v_pk_fma_f32 v[4:5], v[4:5], s[78:79], v[8:9]              // 000000004BA0: D3B04004 1C209D04
	v_pk_fma_f32 v[6:7], v[6:7], s[78:79], v[8:9]              // 000000004BA8: D3B04006 1C209D06
	v_pk_mul_f32 v[4:5], v[4:5], v[64:65]                      // 000000004BB0: D3B14004 18028104
	v_pk_mul_f32 v[6:7], v[6:7], v[66:67]                      // 000000004BB8: D3B14006 18028506
	v_pk_mul_f32 v[4:5], v[4:5], s[60:61]                      // 000000004BC0: D3B14004 18007904
	v_pk_mul_f32 v[6:7], v[6:7], s[60:61]                      // 000000004BC8: D3B14006 18007906
	v_exp_f32_e32 v4, v4                                       // 000000004BD0: 7E084104
	v_exp_f32_e32 v5, v5                                       // 000000004BD4: 7E0A4105
	v_exp_f32_e32 v6, v6                                       // 000000004BD8: 7E0C4106
	v_exp_f32_e32 v7, v7                                       // 000000004BDC: 7E0E4107
	v_add_f32_e64 v4, v4, 1.0                                  // 000000004BE0: D1010004 0001E504
	v_add_f32_e64 v5, v5, 1.0                                  // 000000004BE8: D1010005 0001E505
	v_add_f32_e64 v6, v6, 1.0                                  // 000000004BF0: D1010006 0001E506
	v_add_f32_e64 v7, v7, 1.0                                  // 000000004BF8: D1010007 0001E507
	v_rcp_f32_e32 v4, v4                                       // 000000004C00: 7E084504
	v_rcp_f32_e32 v5, v5                                       // 000000004C04: 7E0A4505
	v_rcp_f32_e32 v6, v6                                       // 000000004C08: 7E0C4506
	v_rcp_f32_e32 v7, v7                                       // 000000004C0C: 7E0E4507
	v_mul_f32_e32 v64, v64, v4                                 // 000000004C10: 0A800940
	v_mul_f32_e32 v65, v65, v5                                 // 000000004C14: 0A820B41
	v_mul_f32_e32 v66, v66, v6                                 // 000000004C18: 0A840D42
	v_mul_f32_e32 v67, v67, v7                                 // 000000004C1C: 0A860F43
	v_mul_f32_e32 v64, v64, v144                               // 000000004C20: 0A812140
	v_mul_f32_e32 v65, v65, v145                               // 000000004C24: 0A832341
	v_mul_f32_e32 v66, v66, v146                               // 000000004C28: 0A852542
	v_mul_f32_e32 v67, v67, v147                               // 000000004C2C: 0A872743
	v_pk_mul_f32 v[4:5], v[68:69], v[68:69]                    // 000000004C30: D3B14004 18028944
	v_pk_mul_f32 v[6:7], v[70:71], v[70:71]                    // 000000004C38: D3B14006 18028D46
	v_pk_fma_f32 v[4:5], v[4:5], s[78:79], v[8:9]              // 000000004C40: D3B04004 1C209D04
	v_pk_fma_f32 v[6:7], v[6:7], s[78:79], v[8:9]              // 000000004C48: D3B04006 1C209D06
	v_pk_mul_f32 v[4:5], v[4:5], v[68:69]                      // 000000004C50: D3B14004 18028904
	v_pk_mul_f32 v[6:7], v[6:7], v[70:71]                      // 000000004C58: D3B14006 18028D06
	v_pk_mul_f32 v[4:5], v[4:5], s[60:61]                      // 000000004C60: D3B14004 18007904
	v_pk_mul_f32 v[6:7], v[6:7], s[60:61]                      // 000000004C68: D3B14006 18007906
	v_exp_f32_e32 v4, v4                                       // 000000004C70: 7E084104
	v_exp_f32_e32 v5, v5                                       // 000000004C74: 7E0A4105
	v_exp_f32_e32 v6, v6                                       // 000000004C78: 7E0C4106
	v_exp_f32_e32 v7, v7                                       // 000000004C7C: 7E0E4107
	v_add_f32_e64 v4, v4, 1.0                                  // 000000004C80: D1010004 0001E504
	v_add_f32_e64 v5, v5, 1.0                                  // 000000004C88: D1010005 0001E505
	v_add_f32_e64 v6, v6, 1.0                                  // 000000004C90: D1010006 0001E506
	v_add_f32_e64 v7, v7, 1.0                                  // 000000004C98: D1010007 0001E507
	v_rcp_f32_e32 v4, v4                                       // 000000004CA0: 7E084504
	v_rcp_f32_e32 v5, v5                                       // 000000004CA4: 7E0A4505
	v_rcp_f32_e32 v6, v6                                       // 000000004CA8: 7E0C4506
	v_rcp_f32_e32 v7, v7                                       // 000000004CAC: 7E0E4507
	v_mul_f32_e32 v68, v68, v4                                 // 000000004CB0: 0A880944
	v_mul_f32_e32 v69, v69, v5                                 // 000000004CB4: 0A8A0B45
	v_mul_f32_e32 v70, v70, v6                                 // 000000004CB8: 0A8C0D46
	v_mul_f32_e32 v71, v71, v7                                 // 000000004CBC: 0A8E0F47
	v_mul_f32_e32 v68, v68, v148                               // 000000004CC0: 0A892944
	v_mul_f32_e32 v69, v69, v149                               // 000000004CC4: 0A8B2B45
	v_mul_f32_e32 v70, v70, v150                               // 000000004CC8: 0A8D2D46
	v_mul_f32_e32 v71, v71, v151                               // 000000004CCC: 0A8F2F47
	v_pk_mul_f32 v[4:5], v[72:73], v[72:73]                    // 000000004CD0: D3B14004 18029148
	v_pk_mul_f32 v[6:7], v[74:75], v[74:75]                    // 000000004CD8: D3B14006 1802954A
	v_pk_fma_f32 v[4:5], v[4:5], s[78:79], v[8:9]              // 000000004CE0: D3B04004 1C209D04
	v_pk_fma_f32 v[6:7], v[6:7], s[78:79], v[8:9]              // 000000004CE8: D3B04006 1C209D06
	v_pk_mul_f32 v[4:5], v[4:5], v[72:73]                      // 000000004CF0: D3B14004 18029104
	v_pk_mul_f32 v[6:7], v[6:7], v[74:75]                      // 000000004CF8: D3B14006 18029506
	v_pk_mul_f32 v[4:5], v[4:5], s[60:61]                      // 000000004D00: D3B14004 18007904
	v_pk_mul_f32 v[6:7], v[6:7], s[60:61]                      // 000000004D08: D3B14006 18007906
	v_exp_f32_e32 v4, v4                                       // 000000004D10: 7E084104
	v_exp_f32_e32 v5, v5                                       // 000000004D14: 7E0A4105
	v_exp_f32_e32 v6, v6                                       // 000000004D18: 7E0C4106
	v_exp_f32_e32 v7, v7                                       // 000000004D1C: 7E0E4107
	v_add_f32_e64 v4, v4, 1.0                                  // 000000004D20: D1010004 0001E504
	v_add_f32_e64 v5, v5, 1.0                                  // 000000004D28: D1010005 0001E505
	v_add_f32_e64 v6, v6, 1.0                                  // 000000004D30: D1010006 0001E506
	v_add_f32_e64 v7, v7, 1.0                                  // 000000004D38: D1010007 0001E507
	v_rcp_f32_e32 v4, v4                                       // 000000004D40: 7E084504
	v_rcp_f32_e32 v5, v5                                       // 000000004D44: 7E0A4505
	v_rcp_f32_e32 v6, v6                                       // 000000004D48: 7E0C4506
	v_rcp_f32_e32 v7, v7                                       // 000000004D4C: 7E0E4507
	v_mul_f32_e32 v72, v72, v4                                 // 000000004D50: 0A900948
	v_mul_f32_e32 v73, v73, v5                                 // 000000004D54: 0A920B49
	v_mul_f32_e32 v74, v74, v6                                 // 000000004D58: 0A940D4A
	v_mul_f32_e32 v75, v75, v7                                 // 000000004D5C: 0A960F4B
	v_mul_f32_e32 v72, v72, v152                               // 000000004D60: 0A913148
	v_mul_f32_e32 v73, v73, v153                               // 000000004D64: 0A933349
	v_mul_f32_e32 v74, v74, v154                               // 000000004D68: 0A95354A
	v_mul_f32_e32 v75, v75, v155                               // 000000004D6C: 0A97374B
	v_pk_mul_f32 v[4:5], v[76:77], v[76:77]                    // 000000004D70: D3B14004 1802994C
	v_pk_mul_f32 v[6:7], v[78:79], v[78:79]                    // 000000004D78: D3B14006 18029D4E
	v_pk_fma_f32 v[4:5], v[4:5], s[78:79], v[8:9]              // 000000004D80: D3B04004 1C209D04
	v_pk_fma_f32 v[6:7], v[6:7], s[78:79], v[8:9]              // 000000004D88: D3B04006 1C209D06
	v_pk_mul_f32 v[4:5], v[4:5], v[76:77]                      // 000000004D90: D3B14004 18029904
	v_pk_mul_f32 v[6:7], v[6:7], v[78:79]                      // 000000004D98: D3B14006 18029D06
	v_pk_mul_f32 v[4:5], v[4:5], s[60:61]                      // 000000004DA0: D3B14004 18007904
	v_pk_mul_f32 v[6:7], v[6:7], s[60:61]                      // 000000004DA8: D3B14006 18007906
	v_exp_f32_e32 v4, v4                                       // 000000004DB0: 7E084104
	v_exp_f32_e32 v5, v5                                       // 000000004DB4: 7E0A4105
	v_exp_f32_e32 v6, v6                                       // 000000004DB8: 7E0C4106
	v_exp_f32_e32 v7, v7                                       // 000000004DBC: 7E0E4107
	v_add_f32_e64 v4, v4, 1.0                                  // 000000004DC0: D1010004 0001E504
	v_add_f32_e64 v5, v5, 1.0                                  // 000000004DC8: D1010005 0001E505
	v_add_f32_e64 v6, v6, 1.0                                  // 000000004DD0: D1010006 0001E506
	v_add_f32_e64 v7, v7, 1.0                                  // 000000004DD8: D1010007 0001E507
	v_rcp_f32_e32 v4, v4                                       // 000000004DE0: 7E084504
	v_rcp_f32_e32 v5, v5                                       // 000000004DE4: 7E0A4505
	v_rcp_f32_e32 v6, v6                                       // 000000004DE8: 7E0C4506
	v_rcp_f32_e32 v7, v7                                       // 000000004DEC: 7E0E4507
	v_mul_f32_e32 v76, v76, v4                                 // 000000004DF0: 0A98094C
	v_mul_f32_e32 v77, v77, v5                                 // 000000004DF4: 0A9A0B4D
	v_mul_f32_e32 v78, v78, v6                                 // 000000004DF8: 0A9C0D4E
	v_mul_f32_e32 v79, v79, v7                                 // 000000004DFC: 0A9E0F4F
	v_mul_f32_e32 v76, v76, v156                               // 000000004E00: 0A99394C
	v_mul_f32_e32 v77, v77, v157                               // 000000004E04: 0A9B3B4D
	v_mul_f32_e32 v78, v78, v158                               // 000000004E08: 0A9D3D4E
	v_mul_f32_e32 v79, v79, v159                               // 000000004E0C: 0A9F3F4F
	v_pk_mul_f32 v[4:5], v[80:81], v[80:81]                    // 000000004E10: D3B14004 1802A150
	v_pk_mul_f32 v[6:7], v[82:83], v[82:83]                    // 000000004E18: D3B14006 1802A552
	v_pk_fma_f32 v[4:5], v[4:5], s[78:79], v[8:9]              // 000000004E20: D3B04004 1C209D04
	v_pk_fma_f32 v[6:7], v[6:7], s[78:79], v[8:9]              // 000000004E28: D3B04006 1C209D06
	v_pk_mul_f32 v[4:5], v[4:5], v[80:81]                      // 000000004E30: D3B14004 1802A104
	v_pk_mul_f32 v[6:7], v[6:7], v[82:83]                      // 000000004E38: D3B14006 1802A506
	v_pk_mul_f32 v[4:5], v[4:5], s[60:61]                      // 000000004E40: D3B14004 18007904
	v_pk_mul_f32 v[6:7], v[6:7], s[60:61]                      // 000000004E48: D3B14006 18007906
	v_exp_f32_e32 v4, v4                                       // 000000004E50: 7E084104
	v_exp_f32_e32 v5, v5                                       // 000000004E54: 7E0A4105
	v_exp_f32_e32 v6, v6                                       // 000000004E58: 7E0C4106
	v_exp_f32_e32 v7, v7                                       // 000000004E5C: 7E0E4107
	v_add_f32_e64 v4, v4, 1.0                                  // 000000004E60: D1010004 0001E504
	v_add_f32_e64 v5, v5, 1.0                                  // 000000004E68: D1010005 0001E505
	v_add_f32_e64 v6, v6, 1.0                                  // 000000004E70: D1010006 0001E506
	v_add_f32_e64 v7, v7, 1.0                                  // 000000004E78: D1010007 0001E507
	v_rcp_f32_e32 v4, v4                                       // 000000004E80: 7E084504
	v_rcp_f32_e32 v5, v5                                       // 000000004E84: 7E0A4505
	v_rcp_f32_e32 v6, v6                                       // 000000004E88: 7E0C4506
	v_rcp_f32_e32 v7, v7                                       // 000000004E8C: 7E0E4507
	v_mul_f32_e32 v80, v80, v4                                 // 000000004E90: 0AA00950
	v_mul_f32_e32 v81, v81, v5                                 // 000000004E94: 0AA20B51
	v_mul_f32_e32 v82, v82, v6                                 // 000000004E98: 0AA40D52
	v_mul_f32_e32 v83, v83, v7                                 // 000000004E9C: 0AA60F53
	v_mul_f32_e32 v80, v80, v160                               // 000000004EA0: 0AA14150
	v_mul_f32_e32 v81, v81, v161                               // 000000004EA4: 0AA34351
	v_mul_f32_e32 v82, v82, v162                               // 000000004EA8: 0AA54552
	v_mul_f32_e32 v83, v83, v163                               // 000000004EAC: 0AA74753
	v_pk_mul_f32 v[4:5], v[84:85], v[84:85]                    // 000000004EB0: D3B14004 1802A954
	v_pk_mul_f32 v[6:7], v[86:87], v[86:87]                    // 000000004EB8: D3B14006 1802AD56
	v_pk_fma_f32 v[4:5], v[4:5], s[78:79], v[8:9]              // 000000004EC0: D3B04004 1C209D04
	v_pk_fma_f32 v[6:7], v[6:7], s[78:79], v[8:9]              // 000000004EC8: D3B04006 1C209D06
	v_pk_mul_f32 v[4:5], v[4:5], v[84:85]                      // 000000004ED0: D3B14004 1802A904
	v_pk_mul_f32 v[6:7], v[6:7], v[86:87]                      // 000000004ED8: D3B14006 1802AD06
	v_pk_mul_f32 v[4:5], v[4:5], s[60:61]                      // 000000004EE0: D3B14004 18007904
	v_pk_mul_f32 v[6:7], v[6:7], s[60:61]                      // 000000004EE8: D3B14006 18007906
	v_exp_f32_e32 v4, v4                                       // 000000004EF0: 7E084104
	v_exp_f32_e32 v5, v5                                       // 000000004EF4: 7E0A4105
	v_exp_f32_e32 v6, v6                                       // 000000004EF8: 7E0C4106
	v_exp_f32_e32 v7, v7                                       // 000000004EFC: 7E0E4107
	v_add_f32_e64 v4, v4, 1.0                                  // 000000004F00: D1010004 0001E504
	v_add_f32_e64 v5, v5, 1.0                                  // 000000004F08: D1010005 0001E505
	v_add_f32_e64 v6, v6, 1.0                                  // 000000004F10: D1010006 0001E506
	v_add_f32_e64 v7, v7, 1.0                                  // 000000004F18: D1010007 0001E507
	v_rcp_f32_e32 v4, v4                                       // 000000004F20: 7E084504
	v_rcp_f32_e32 v5, v5                                       // 000000004F24: 7E0A4505
	v_rcp_f32_e32 v6, v6                                       // 000000004F28: 7E0C4506
	v_rcp_f32_e32 v7, v7                                       // 000000004F2C: 7E0E4507
	v_mul_f32_e32 v84, v84, v4                                 // 000000004F30: 0AA80954
	v_mul_f32_e32 v85, v85, v5                                 // 000000004F34: 0AAA0B55
	v_mul_f32_e32 v86, v86, v6                                 // 000000004F38: 0AAC0D56
	v_mul_f32_e32 v87, v87, v7                                 // 000000004F3C: 0AAE0F57
	v_mul_f32_e32 v84, v84, v164                               // 000000004F40: 0AA94954
	v_mul_f32_e32 v85, v85, v165                               // 000000004F44: 0AAB4B55
	v_mul_f32_e32 v86, v86, v166                               // 000000004F48: 0AAD4D56
	v_mul_f32_e32 v87, v87, v167                               // 000000004F4C: 0AAF4F57
	v_pk_mul_f32 v[4:5], v[88:89], v[88:89]                    // 000000004F50: D3B14004 1802B158
	v_pk_mul_f32 v[6:7], v[90:91], v[90:91]                    // 000000004F58: D3B14006 1802B55A
	v_pk_fma_f32 v[4:5], v[4:5], s[78:79], v[8:9]              // 000000004F60: D3B04004 1C209D04
	v_pk_fma_f32 v[6:7], v[6:7], s[78:79], v[8:9]              // 000000004F68: D3B04006 1C209D06
	v_pk_mul_f32 v[4:5], v[4:5], v[88:89]                      // 000000004F70: D3B14004 1802B104
	v_pk_mul_f32 v[6:7], v[6:7], v[90:91]                      // 000000004F78: D3B14006 1802B506
	v_pk_mul_f32 v[4:5], v[4:5], s[60:61]                      // 000000004F80: D3B14004 18007904
	v_pk_mul_f32 v[6:7], v[6:7], s[60:61]                      // 000000004F88: D3B14006 18007906
	v_exp_f32_e32 v4, v4                                       // 000000004F90: 7E084104
	v_exp_f32_e32 v5, v5                                       // 000000004F94: 7E0A4105
	v_exp_f32_e32 v6, v6                                       // 000000004F98: 7E0C4106
	v_exp_f32_e32 v7, v7                                       // 000000004F9C: 7E0E4107
	v_add_f32_e64 v4, v4, 1.0                                  // 000000004FA0: D1010004 0001E504
	v_add_f32_e64 v5, v5, 1.0                                  // 000000004FA8: D1010005 0001E505
	v_add_f32_e64 v6, v6, 1.0                                  // 000000004FB0: D1010006 0001E506
	v_add_f32_e64 v7, v7, 1.0                                  // 000000004FB8: D1010007 0001E507
	v_rcp_f32_e32 v4, v4                                       // 000000004FC0: 7E084504
	v_rcp_f32_e32 v5, v5                                       // 000000004FC4: 7E0A4505
	v_rcp_f32_e32 v6, v6                                       // 000000004FC8: 7E0C4506
	v_rcp_f32_e32 v7, v7                                       // 000000004FCC: 7E0E4507
	v_mul_f32_e32 v88, v88, v4                                 // 000000004FD0: 0AB00958
	v_mul_f32_e32 v89, v89, v5                                 // 000000004FD4: 0AB20B59
	v_mul_f32_e32 v90, v90, v6                                 // 000000004FD8: 0AB40D5A
	v_mul_f32_e32 v91, v91, v7                                 // 000000004FDC: 0AB60F5B
	v_mul_f32_e32 v88, v88, v168                               // 000000004FE0: 0AB15158
	v_mul_f32_e32 v89, v89, v169                               // 000000004FE4: 0AB35359
	v_mul_f32_e32 v90, v90, v170                               // 000000004FE8: 0AB5555A
	v_mul_f32_e32 v91, v91, v171                               // 000000004FEC: 0AB7575B
	v_pk_mul_f32 v[4:5], v[92:93], v[92:93]                    // 000000004FF0: D3B14004 1802B95C
	v_pk_mul_f32 v[6:7], v[94:95], v[94:95]                    // 000000004FF8: D3B14006 1802BD5E
	v_pk_fma_f32 v[4:5], v[4:5], s[78:79], v[8:9]              // 000000005000: D3B04004 1C209D04
	v_pk_fma_f32 v[6:7], v[6:7], s[78:79], v[8:9]              // 000000005008: D3B04006 1C209D06
	v_pk_mul_f32 v[4:5], v[4:5], v[92:93]                      // 000000005010: D3B14004 1802B904
	v_pk_mul_f32 v[6:7], v[6:7], v[94:95]                      // 000000005018: D3B14006 1802BD06
	v_pk_mul_f32 v[4:5], v[4:5], s[60:61]                      // 000000005020: D3B14004 18007904
	v_pk_mul_f32 v[6:7], v[6:7], s[60:61]                      // 000000005028: D3B14006 18007906
	v_exp_f32_e32 v4, v4                                       // 000000005030: 7E084104
	v_exp_f32_e32 v5, v5                                       // 000000005034: 7E0A4105
	v_exp_f32_e32 v6, v6                                       // 000000005038: 7E0C4106
	v_exp_f32_e32 v7, v7                                       // 00000000503C: 7E0E4107
	v_add_f32_e64 v4, v4, 1.0                                  // 000000005040: D1010004 0001E504
	v_add_f32_e64 v5, v5, 1.0                                  // 000000005048: D1010005 0001E505
	v_add_f32_e64 v6, v6, 1.0                                  // 000000005050: D1010006 0001E506
	v_add_f32_e64 v7, v7, 1.0                                  // 000000005058: D1010007 0001E507
	v_rcp_f32_e32 v4, v4                                       // 000000005060: 7E084504
	v_rcp_f32_e32 v5, v5                                       // 000000005064: 7E0A4505
	v_rcp_f32_e32 v6, v6                                       // 000000005068: 7E0C4506
	v_rcp_f32_e32 v7, v7                                       // 00000000506C: 7E0E4507
	v_mul_f32_e32 v92, v92, v4                                 // 000000005070: 0AB8095C
	v_mul_f32_e32 v93, v93, v5                                 // 000000005074: 0ABA0B5D
	v_mul_f32_e32 v94, v94, v6                                 // 000000005078: 0ABC0D5E
	v_mul_f32_e32 v95, v95, v7                                 // 00000000507C: 0ABE0F5F
	v_mul_f32_e32 v92, v92, v172                               // 000000005080: 0AB9595C
	v_mul_f32_e32 v93, v93, v173                               // 000000005084: 0ABB5B5D
	v_mul_f32_e32 v94, v94, v174                               // 000000005088: 0ABD5D5E
	v_mul_f32_e32 v95, v95, v175                               // 00000000508C: 0ABF5F5F
	v_pk_mul_f32 v[4:5], v[96:97], v[96:97]                    // 000000005090: D3B14004 1802C160
	v_pk_mul_f32 v[6:7], v[98:99], v[98:99]                    // 000000005098: D3B14006 1802C562
	v_pk_fma_f32 v[4:5], v[4:5], s[78:79], v[8:9]              // 0000000050A0: D3B04004 1C209D04
	v_pk_fma_f32 v[6:7], v[6:7], s[78:79], v[8:9]              // 0000000050A8: D3B04006 1C209D06
	v_pk_mul_f32 v[4:5], v[4:5], v[96:97]                      // 0000000050B0: D3B14004 1802C104
	v_pk_mul_f32 v[6:7], v[6:7], v[98:99]                      // 0000000050B8: D3B14006 1802C506
	v_pk_mul_f32 v[4:5], v[4:5], s[60:61]                      // 0000000050C0: D3B14004 18007904
	v_pk_mul_f32 v[6:7], v[6:7], s[60:61]                      // 0000000050C8: D3B14006 18007906
	v_exp_f32_e32 v4, v4                                       // 0000000050D0: 7E084104
	v_exp_f32_e32 v5, v5                                       // 0000000050D4: 7E0A4105
	v_exp_f32_e32 v6, v6                                       // 0000000050D8: 7E0C4106
	v_exp_f32_e32 v7, v7                                       // 0000000050DC: 7E0E4107
	v_add_f32_e64 v4, v4, 1.0                                  // 0000000050E0: D1010004 0001E504
	v_add_f32_e64 v5, v5, 1.0                                  // 0000000050E8: D1010005 0001E505
	v_add_f32_e64 v6, v6, 1.0                                  // 0000000050F0: D1010006 0001E506
	v_add_f32_e64 v7, v7, 1.0                                  // 0000000050F8: D1010007 0001E507
	v_rcp_f32_e32 v4, v4                                       // 000000005100: 7E084504
	v_rcp_f32_e32 v5, v5                                       // 000000005104: 7E0A4505
	v_rcp_f32_e32 v6, v6                                       // 000000005108: 7E0C4506
	v_rcp_f32_e32 v7, v7                                       // 00000000510C: 7E0E4507
	v_mul_f32_e32 v96, v96, v4                                 // 000000005110: 0AC00960
	v_mul_f32_e32 v97, v97, v5                                 // 000000005114: 0AC20B61
	v_mul_f32_e32 v98, v98, v6                                 // 000000005118: 0AC40D62
	v_mul_f32_e32 v99, v99, v7                                 // 00000000511C: 0AC60F63
	v_mul_f32_e32 v96, v96, v176                               // 000000005120: 0AC16160
	v_mul_f32_e32 v97, v97, v177                               // 000000005124: 0AC36361
	v_mul_f32_e32 v98, v98, v178                               // 000000005128: 0AC56562
	v_mul_f32_e32 v99, v99, v179                               // 00000000512C: 0AC76763
	v_pk_mul_f32 v[4:5], v[100:101], v[100:101]                // 000000005130: D3B14004 1802C964
	v_pk_mul_f32 v[6:7], v[102:103], v[102:103]                // 000000005138: D3B14006 1802CD66
	v_pk_fma_f32 v[4:5], v[4:5], s[78:79], v[8:9]              // 000000005140: D3B04004 1C209D04
	v_pk_fma_f32 v[6:7], v[6:7], s[78:79], v[8:9]              // 000000005148: D3B04006 1C209D06
	v_pk_mul_f32 v[4:5], v[4:5], v[100:101]                    // 000000005150: D3B14004 1802C904
	v_pk_mul_f32 v[6:7], v[6:7], v[102:103]                    // 000000005158: D3B14006 1802CD06
	v_pk_mul_f32 v[4:5], v[4:5], s[60:61]                      // 000000005160: D3B14004 18007904
	v_pk_mul_f32 v[6:7], v[6:7], s[60:61]                      // 000000005168: D3B14006 18007906
	v_exp_f32_e32 v4, v4                                       // 000000005170: 7E084104
	v_exp_f32_e32 v5, v5                                       // 000000005174: 7E0A4105
	v_exp_f32_e32 v6, v6                                       // 000000005178: 7E0C4106
	v_exp_f32_e32 v7, v7                                       // 00000000517C: 7E0E4107
	v_add_f32_e64 v4, v4, 1.0                                  // 000000005180: D1010004 0001E504
	v_add_f32_e64 v5, v5, 1.0                                  // 000000005188: D1010005 0001E505
	v_add_f32_e64 v6, v6, 1.0                                  // 000000005190: D1010006 0001E506
	v_add_f32_e64 v7, v7, 1.0                                  // 000000005198: D1010007 0001E507
	v_rcp_f32_e32 v4, v4                                       // 0000000051A0: 7E084504
	v_rcp_f32_e32 v5, v5                                       // 0000000051A4: 7E0A4505
	v_rcp_f32_e32 v6, v6                                       // 0000000051A8: 7E0C4506
	v_rcp_f32_e32 v7, v7                                       // 0000000051AC: 7E0E4507
	v_mul_f32_e32 v100, v100, v4                               // 0000000051B0: 0AC80964
	v_mul_f32_e32 v101, v101, v5                               // 0000000051B4: 0ACA0B65
	v_mul_f32_e32 v102, v102, v6                               // 0000000051B8: 0ACC0D66
	v_mul_f32_e32 v103, v103, v7                               // 0000000051BC: 0ACE0F67
	v_mul_f32_e32 v100, v100, v180                             // 0000000051C0: 0AC96964
	v_mul_f32_e32 v101, v101, v181                             // 0000000051C4: 0ACB6B65
	v_mul_f32_e32 v102, v102, v182                             // 0000000051C8: 0ACD6D66
	v_mul_f32_e32 v103, v103, v183                             // 0000000051CC: 0ACF6F67
	v_pk_mul_f32 v[4:5], v[104:105], v[104:105]                // 0000000051D0: D3B14004 1802D168
	v_pk_mul_f32 v[6:7], v[106:107], v[106:107]                // 0000000051D8: D3B14006 1802D56A
	v_pk_fma_f32 v[4:5], v[4:5], s[78:79], v[8:9]              // 0000000051E0: D3B04004 1C209D04
	v_pk_fma_f32 v[6:7], v[6:7], s[78:79], v[8:9]              // 0000000051E8: D3B04006 1C209D06
	v_pk_mul_f32 v[4:5], v[4:5], v[104:105]                    // 0000000051F0: D3B14004 1802D104
	v_pk_mul_f32 v[6:7], v[6:7], v[106:107]                    // 0000000051F8: D3B14006 1802D506
	v_pk_mul_f32 v[4:5], v[4:5], s[60:61]                      // 000000005200: D3B14004 18007904
	v_pk_mul_f32 v[6:7], v[6:7], s[60:61]                      // 000000005208: D3B14006 18007906
	v_exp_f32_e32 v4, v4                                       // 000000005210: 7E084104
	v_exp_f32_e32 v5, v5                                       // 000000005214: 7E0A4105
	v_exp_f32_e32 v6, v6                                       // 000000005218: 7E0C4106
	v_exp_f32_e32 v7, v7                                       // 00000000521C: 7E0E4107
	v_add_f32_e64 v4, v4, 1.0                                  // 000000005220: D1010004 0001E504
	v_add_f32_e64 v5, v5, 1.0                                  // 000000005228: D1010005 0001E505
	v_add_f32_e64 v6, v6, 1.0                                  // 000000005230: D1010006 0001E506
	v_add_f32_e64 v7, v7, 1.0                                  // 000000005238: D1010007 0001E507
	v_rcp_f32_e32 v4, v4                                       // 000000005240: 7E084504
	v_rcp_f32_e32 v5, v5                                       // 000000005244: 7E0A4505
	v_rcp_f32_e32 v6, v6                                       // 000000005248: 7E0C4506
	v_rcp_f32_e32 v7, v7                                       // 00000000524C: 7E0E4507
	v_mul_f32_e32 v104, v104, v4                               // 000000005250: 0AD00968
	v_mul_f32_e32 v105, v105, v5                               // 000000005254: 0AD20B69
	v_mul_f32_e32 v106, v106, v6                               // 000000005258: 0AD40D6A
	v_mul_f32_e32 v107, v107, v7                               // 00000000525C: 0AD60F6B
	v_mul_f32_e32 v104, v104, v184                             // 000000005260: 0AD17168
	v_mul_f32_e32 v105, v105, v185                             // 000000005264: 0AD37369
	v_mul_f32_e32 v106, v106, v186                             // 000000005268: 0AD5756A
	v_mul_f32_e32 v107, v107, v187                             // 00000000526C: 0AD7776B
	v_pk_mul_f32 v[4:5], v[108:109], v[108:109]                // 000000005270: D3B14004 1802D96C
	v_pk_mul_f32 v[6:7], v[110:111], v[110:111]                // 000000005278: D3B14006 1802DD6E
	v_pk_fma_f32 v[4:5], v[4:5], s[78:79], v[8:9]              // 000000005280: D3B04004 1C209D04
	v_pk_fma_f32 v[6:7], v[6:7], s[78:79], v[8:9]              // 000000005288: D3B04006 1C209D06
	v_pk_mul_f32 v[4:5], v[4:5], v[108:109]                    // 000000005290: D3B14004 1802D904
	v_pk_mul_f32 v[6:7], v[6:7], v[110:111]                    // 000000005298: D3B14006 1802DD06
	v_pk_mul_f32 v[4:5], v[4:5], s[60:61]                      // 0000000052A0: D3B14004 18007904
	v_pk_mul_f32 v[6:7], v[6:7], s[60:61]                      // 0000000052A8: D3B14006 18007906
	v_exp_f32_e32 v4, v4                                       // 0000000052B0: 7E084104
	v_exp_f32_e32 v5, v5                                       // 0000000052B4: 7E0A4105
	v_exp_f32_e32 v6, v6                                       // 0000000052B8: 7E0C4106
	v_exp_f32_e32 v7, v7                                       // 0000000052BC: 7E0E4107
	v_add_f32_e64 v4, v4, 1.0                                  // 0000000052C0: D1010004 0001E504
	v_add_f32_e64 v5, v5, 1.0                                  // 0000000052C8: D1010005 0001E505
	v_add_f32_e64 v6, v6, 1.0                                  // 0000000052D0: D1010006 0001E506
	v_add_f32_e64 v7, v7, 1.0                                  // 0000000052D8: D1010007 0001E507
	v_rcp_f32_e32 v4, v4                                       // 0000000052E0: 7E084504
	v_rcp_f32_e32 v5, v5                                       // 0000000052E4: 7E0A4505
	v_rcp_f32_e32 v6, v6                                       // 0000000052E8: 7E0C4506
	v_rcp_f32_e32 v7, v7                                       // 0000000052EC: 7E0E4507
	v_mul_f32_e32 v108, v108, v4                               // 0000000052F0: 0AD8096C
	v_mul_f32_e32 v109, v109, v5                               // 0000000052F4: 0ADA0B6D
	v_mul_f32_e32 v110, v110, v6                               // 0000000052F8: 0ADC0D6E
	v_mul_f32_e32 v111, v111, v7                               // 0000000052FC: 0ADE0F6F
	v_mul_f32_e32 v108, v108, v188                             // 000000005300: 0AD9796C
	v_mul_f32_e32 v109, v109, v189                             // 000000005304: 0ADB7B6D
	v_mul_f32_e32 v110, v110, v190                             // 000000005308: 0ADD7D6E
	v_mul_f32_e32 v111, v111, v191                             // 00000000530C: 0ADF7F6F
	v_pk_mul_f32 v[4:5], v[112:113], v[112:113]                // 000000005310: D3B14004 1802E170
	v_pk_mul_f32 v[6:7], v[114:115], v[114:115]                // 000000005318: D3B14006 1802E572
	v_pk_fma_f32 v[4:5], v[4:5], s[78:79], v[8:9]              // 000000005320: D3B04004 1C209D04
	v_pk_fma_f32 v[6:7], v[6:7], s[78:79], v[8:9]              // 000000005328: D3B04006 1C209D06
	v_pk_mul_f32 v[4:5], v[4:5], v[112:113]                    // 000000005330: D3B14004 1802E104
	v_pk_mul_f32 v[6:7], v[6:7], v[114:115]                    // 000000005338: D3B14006 1802E506
	v_pk_mul_f32 v[4:5], v[4:5], s[60:61]                      // 000000005340: D3B14004 18007904
	v_pk_mul_f32 v[6:7], v[6:7], s[60:61]                      // 000000005348: D3B14006 18007906
	v_exp_f32_e32 v4, v4                                       // 000000005350: 7E084104
	v_exp_f32_e32 v5, v5                                       // 000000005354: 7E0A4105
	v_exp_f32_e32 v6, v6                                       // 000000005358: 7E0C4106
	v_exp_f32_e32 v7, v7                                       // 00000000535C: 7E0E4107
	v_add_f32_e64 v4, v4, 1.0                                  // 000000005360: D1010004 0001E504
	v_add_f32_e64 v5, v5, 1.0                                  // 000000005368: D1010005 0001E505
	v_add_f32_e64 v6, v6, 1.0                                  // 000000005370: D1010006 0001E506
	v_add_f32_e64 v7, v7, 1.0                                  // 000000005378: D1010007 0001E507
	v_rcp_f32_e32 v4, v4                                       // 000000005380: 7E084504
	v_rcp_f32_e32 v5, v5                                       // 000000005384: 7E0A4505
	v_rcp_f32_e32 v6, v6                                       // 000000005388: 7E0C4506
	v_rcp_f32_e32 v7, v7                                       // 00000000538C: 7E0E4507
	v_mul_f32_e32 v112, v112, v4                               // 000000005390: 0AE00970
	v_mul_f32_e32 v113, v113, v5                               // 000000005394: 0AE20B71
	v_mul_f32_e32 v114, v114, v6                               // 000000005398: 0AE40D72
	v_mul_f32_e32 v115, v115, v7                               // 00000000539C: 0AE60F73
	v_mul_f32_e32 v112, v112, v192                             // 0000000053A0: 0AE18170
	v_mul_f32_e32 v113, v113, v193                             // 0000000053A4: 0AE38371
	v_mul_f32_e32 v114, v114, v194                             // 0000000053A8: 0AE58572
	v_mul_f32_e32 v115, v115, v195                             // 0000000053AC: 0AE78773
	v_pk_mul_f32 v[4:5], v[116:117], v[116:117]                // 0000000053B0: D3B14004 1802E974
	v_pk_mul_f32 v[6:7], v[118:119], v[118:119]                // 0000000053B8: D3B14006 1802ED76
	v_pk_fma_f32 v[4:5], v[4:5], s[78:79], v[8:9]              // 0000000053C0: D3B04004 1C209D04
	v_pk_fma_f32 v[6:7], v[6:7], s[78:79], v[8:9]              // 0000000053C8: D3B04006 1C209D06
	v_pk_mul_f32 v[4:5], v[4:5], v[116:117]                    // 0000000053D0: D3B14004 1802E904
	v_pk_mul_f32 v[6:7], v[6:7], v[118:119]                    // 0000000053D8: D3B14006 1802ED06
	v_pk_mul_f32 v[4:5], v[4:5], s[60:61]                      // 0000000053E0: D3B14004 18007904
	v_pk_mul_f32 v[6:7], v[6:7], s[60:61]                      // 0000000053E8: D3B14006 18007906
	v_exp_f32_e32 v4, v4                                       // 0000000053F0: 7E084104
	v_exp_f32_e32 v5, v5                                       // 0000000053F4: 7E0A4105
	v_exp_f32_e32 v6, v6                                       // 0000000053F8: 7E0C4106
	v_exp_f32_e32 v7, v7                                       // 0000000053FC: 7E0E4107
	v_add_f32_e64 v4, v4, 1.0                                  // 000000005400: D1010004 0001E504
	v_add_f32_e64 v5, v5, 1.0                                  // 000000005408: D1010005 0001E505
	v_add_f32_e64 v6, v6, 1.0                                  // 000000005410: D1010006 0001E506
	v_add_f32_e64 v7, v7, 1.0                                  // 000000005418: D1010007 0001E507
	v_rcp_f32_e32 v4, v4                                       // 000000005420: 7E084504
	v_rcp_f32_e32 v5, v5                                       // 000000005424: 7E0A4505
	v_rcp_f32_e32 v6, v6                                       // 000000005428: 7E0C4506
	v_rcp_f32_e32 v7, v7                                       // 00000000542C: 7E0E4507
	v_mul_f32_e32 v116, v116, v4                               // 000000005430: 0AE80974
	v_mul_f32_e32 v117, v117, v5                               // 000000005434: 0AEA0B75
	v_mul_f32_e32 v118, v118, v6                               // 000000005438: 0AEC0D76
	v_mul_f32_e32 v119, v119, v7                               // 00000000543C: 0AEE0F77
	v_mul_f32_e32 v116, v116, v196                             // 000000005440: 0AE98974
	v_mul_f32_e32 v117, v117, v197                             // 000000005444: 0AEB8B75
	v_mul_f32_e32 v118, v118, v198                             // 000000005448: 0AED8D76
	v_mul_f32_e32 v119, v119, v199                             // 00000000544C: 0AEF8F77
	v_pk_mul_f32 v[4:5], v[120:121], v[120:121]                // 000000005450: D3B14004 1802F178
	v_pk_mul_f32 v[6:7], v[122:123], v[122:123]                // 000000005458: D3B14006 1802F57A
	v_pk_fma_f32 v[4:5], v[4:5], s[78:79], v[8:9]              // 000000005460: D3B04004 1C209D04
	v_pk_fma_f32 v[6:7], v[6:7], s[78:79], v[8:9]              // 000000005468: D3B04006 1C209D06
	v_pk_mul_f32 v[4:5], v[4:5], v[120:121]                    // 000000005470: D3B14004 1802F104
	v_pk_mul_f32 v[6:7], v[6:7], v[122:123]                    // 000000005478: D3B14006 1802F506
	v_pk_mul_f32 v[4:5], v[4:5], s[60:61]                      // 000000005480: D3B14004 18007904
	v_pk_mul_f32 v[6:7], v[6:7], s[60:61]                      // 000000005488: D3B14006 18007906
	v_exp_f32_e32 v4, v4                                       // 000000005490: 7E084104
	v_exp_f32_e32 v5, v5                                       // 000000005494: 7E0A4105
	v_exp_f32_e32 v6, v6                                       // 000000005498: 7E0C4106
	v_exp_f32_e32 v7, v7                                       // 00000000549C: 7E0E4107
	v_add_f32_e64 v4, v4, 1.0                                  // 0000000054A0: D1010004 0001E504
	v_add_f32_e64 v5, v5, 1.0                                  // 0000000054A8: D1010005 0001E505
	v_add_f32_e64 v6, v6, 1.0                                  // 0000000054B0: D1010006 0001E506
	v_add_f32_e64 v7, v7, 1.0                                  // 0000000054B8: D1010007 0001E507
	v_rcp_f32_e32 v4, v4                                       // 0000000054C0: 7E084504
	v_rcp_f32_e32 v5, v5                                       // 0000000054C4: 7E0A4505
	v_rcp_f32_e32 v6, v6                                       // 0000000054C8: 7E0C4506
	v_rcp_f32_e32 v7, v7                                       // 0000000054CC: 7E0E4507
	v_mul_f32_e32 v120, v120, v4                               // 0000000054D0: 0AF00978
	v_mul_f32_e32 v121, v121, v5                               // 0000000054D4: 0AF20B79
	v_mul_f32_e32 v122, v122, v6                               // 0000000054D8: 0AF40D7A
	v_mul_f32_e32 v123, v123, v7                               // 0000000054DC: 0AF60F7B
	v_mul_f32_e32 v120, v120, v200                             // 0000000054E0: 0AF19178
	v_mul_f32_e32 v121, v121, v201                             // 0000000054E4: 0AF39379
	v_mul_f32_e32 v122, v122, v202                             // 0000000054E8: 0AF5957A
	v_mul_f32_e32 v123, v123, v203                             // 0000000054EC: 0AF7977B
	v_pk_mul_f32 v[4:5], v[124:125], v[124:125]                // 0000000054F0: D3B14004 1802F97C
	v_pk_mul_f32 v[6:7], v[126:127], v[126:127]                // 0000000054F8: D3B14006 1802FD7E
	v_pk_fma_f32 v[4:5], v[4:5], s[78:79], v[8:9]              // 000000005500: D3B04004 1C209D04
	v_pk_fma_f32 v[6:7], v[6:7], s[78:79], v[8:9]              // 000000005508: D3B04006 1C209D06
	v_pk_mul_f32 v[4:5], v[4:5], v[124:125]                    // 000000005510: D3B14004 1802F904
	v_pk_mul_f32 v[6:7], v[6:7], v[126:127]                    // 000000005518: D3B14006 1802FD06
	v_pk_mul_f32 v[4:5], v[4:5], s[60:61]                      // 000000005520: D3B14004 18007904
	v_pk_mul_f32 v[6:7], v[6:7], s[60:61]                      // 000000005528: D3B14006 18007906
	v_exp_f32_e32 v4, v4                                       // 000000005530: 7E084104
	v_exp_f32_e32 v5, v5                                       // 000000005534: 7E0A4105
	v_exp_f32_e32 v6, v6                                       // 000000005538: 7E0C4106
	v_exp_f32_e32 v7, v7                                       // 00000000553C: 7E0E4107
	v_add_f32_e64 v4, v4, 1.0                                  // 000000005540: D1010004 0001E504
	v_add_f32_e64 v5, v5, 1.0                                  // 000000005548: D1010005 0001E505
	v_add_f32_e64 v6, v6, 1.0                                  // 000000005550: D1010006 0001E506
	v_add_f32_e64 v7, v7, 1.0                                  // 000000005558: D1010007 0001E507
	v_rcp_f32_e32 v4, v4                                       // 000000005560: 7E084504
	v_rcp_f32_e32 v5, v5                                       // 000000005564: 7E0A4505
	v_rcp_f32_e32 v6, v6                                       // 000000005568: 7E0C4506
	v_rcp_f32_e32 v7, v7                                       // 00000000556C: 7E0E4507
	v_mul_f32_e32 v124, v124, v4                               // 000000005570: 0AF8097C
	v_mul_f32_e32 v125, v125, v5                               // 000000005574: 0AFA0B7D
	v_mul_f32_e32 v126, v126, v6                               // 000000005578: 0AFC0D7E
	v_mul_f32_e32 v127, v127, v7                               // 00000000557C: 0AFE0F7F
	v_mul_f32_e32 v124, v124, v204                             // 000000005580: 0AF9997C
	v_mul_f32_e32 v125, v125, v205                             // 000000005584: 0AFB9B7D
	v_mul_f32_e32 v126, v126, v206                             // 000000005588: 0AFD9D7E
	v_mul_f32_e32 v127, v127, v207                             // 00000000558C: 0AFF9F7F
	v_pk_mul_f32 v[4:5], v[128:129], v[128:129]                // 000000005590: D3B14004 18030180
	v_pk_mul_f32 v[6:7], v[130:131], v[130:131]                // 000000005598: D3B14006 18030582
	v_pk_fma_f32 v[4:5], v[4:5], s[78:79], v[8:9]              // 0000000055A0: D3B04004 1C209D04
	v_pk_fma_f32 v[6:7], v[6:7], s[78:79], v[8:9]              // 0000000055A8: D3B04006 1C209D06
	v_pk_mul_f32 v[4:5], v[4:5], v[128:129]                    // 0000000055B0: D3B14004 18030104
	v_pk_mul_f32 v[6:7], v[6:7], v[130:131]                    // 0000000055B8: D3B14006 18030506
	v_pk_mul_f32 v[4:5], v[4:5], s[60:61]                      // 0000000055C0: D3B14004 18007904
	v_pk_mul_f32 v[6:7], v[6:7], s[60:61]                      // 0000000055C8: D3B14006 18007906
	v_exp_f32_e32 v4, v4                                       // 0000000055D0: 7E084104
	v_exp_f32_e32 v5, v5                                       // 0000000055D4: 7E0A4105
	v_exp_f32_e32 v6, v6                                       // 0000000055D8: 7E0C4106
	v_exp_f32_e32 v7, v7                                       // 0000000055DC: 7E0E4107
	v_add_f32_e64 v4, v4, 1.0                                  // 0000000055E0: D1010004 0001E504
	v_add_f32_e64 v5, v5, 1.0                                  // 0000000055E8: D1010005 0001E505
	v_add_f32_e64 v6, v6, 1.0                                  // 0000000055F0: D1010006 0001E506
	v_add_f32_e64 v7, v7, 1.0                                  // 0000000055F8: D1010007 0001E507
	v_rcp_f32_e32 v4, v4                                       // 000000005600: 7E084504
	v_rcp_f32_e32 v5, v5                                       // 000000005604: 7E0A4505
	v_rcp_f32_e32 v6, v6                                       // 000000005608: 7E0C4506
	v_rcp_f32_e32 v7, v7                                       // 00000000560C: 7E0E4507
	v_mul_f32_e32 v128, v128, v4                               // 000000005610: 0B000980
	v_mul_f32_e32 v129, v129, v5                               // 000000005614: 0B020B81
	v_mul_f32_e32 v130, v130, v6                               // 000000005618: 0B040D82
	v_mul_f32_e32 v131, v131, v7                               // 00000000561C: 0B060F83
	v_mul_f32_e32 v128, v128, v208                             // 000000005620: 0B01A180
	v_mul_f32_e32 v129, v129, v209                             // 000000005624: 0B03A381
	v_mul_f32_e32 v130, v130, v210                             // 000000005628: 0B05A582
	v_mul_f32_e32 v131, v131, v211                             // 00000000562C: 0B07A783
	v_pk_mul_f32 v[4:5], v[132:133], v[132:133]                // 000000005630: D3B14004 18030984
	v_pk_mul_f32 v[6:7], v[134:135], v[134:135]                // 000000005638: D3B14006 18030D86
	v_pk_fma_f32 v[4:5], v[4:5], s[78:79], v[8:9]              // 000000005640: D3B04004 1C209D04
	v_pk_fma_f32 v[6:7], v[6:7], s[78:79], v[8:9]              // 000000005648: D3B04006 1C209D06
	v_pk_mul_f32 v[4:5], v[4:5], v[132:133]                    // 000000005650: D3B14004 18030904
	v_pk_mul_f32 v[6:7], v[6:7], v[134:135]                    // 000000005658: D3B14006 18030D06
	v_pk_mul_f32 v[4:5], v[4:5], s[60:61]                      // 000000005660: D3B14004 18007904
	v_pk_mul_f32 v[6:7], v[6:7], s[60:61]                      // 000000005668: D3B14006 18007906
	v_exp_f32_e32 v4, v4                                       // 000000005670: 7E084104
	v_exp_f32_e32 v5, v5                                       // 000000005674: 7E0A4105
	v_exp_f32_e32 v6, v6                                       // 000000005678: 7E0C4106
	v_exp_f32_e32 v7, v7                                       // 00000000567C: 7E0E4107
	v_add_f32_e64 v4, v4, 1.0                                  // 000000005680: D1010004 0001E504
	v_add_f32_e64 v5, v5, 1.0                                  // 000000005688: D1010005 0001E505
	v_add_f32_e64 v6, v6, 1.0                                  // 000000005690: D1010006 0001E506
	v_add_f32_e64 v7, v7, 1.0                                  // 000000005698: D1010007 0001E507
	v_rcp_f32_e32 v4, v4                                       // 0000000056A0: 7E084504
	v_rcp_f32_e32 v5, v5                                       // 0000000056A4: 7E0A4505
	v_rcp_f32_e32 v6, v6                                       // 0000000056A8: 7E0C4506
	v_rcp_f32_e32 v7, v7                                       // 0000000056AC: 7E0E4507
	v_mul_f32_e32 v132, v132, v4                               // 0000000056B0: 0B080984
	v_mul_f32_e32 v133, v133, v5                               // 0000000056B4: 0B0A0B85
	v_mul_f32_e32 v134, v134, v6                               // 0000000056B8: 0B0C0D86
	v_mul_f32_e32 v135, v135, v7                               // 0000000056BC: 0B0E0F87
	v_mul_f32_e32 v132, v132, v212                             // 0000000056C0: 0B09A984
	v_mul_f32_e32 v133, v133, v213                             // 0000000056C4: 0B0BAB85
	v_mul_f32_e32 v134, v134, v214                             // 0000000056C8: 0B0DAD86
	v_mul_f32_e32 v135, v135, v215                             // 0000000056CC: 0B0FAF87
	v_pk_mul_f32 v[4:5], v[136:137], v[136:137]                // 0000000056D0: D3B14004 18031188
	v_pk_mul_f32 v[6:7], v[138:139], v[138:139]                // 0000000056D8: D3B14006 1803158A
	v_pk_fma_f32 v[4:5], v[4:5], s[78:79], v[8:9]              // 0000000056E0: D3B04004 1C209D04
	v_pk_fma_f32 v[6:7], v[6:7], s[78:79], v[8:9]              // 0000000056E8: D3B04006 1C209D06
	v_pk_mul_f32 v[4:5], v[4:5], v[136:137]                    // 0000000056F0: D3B14004 18031104
	v_pk_mul_f32 v[6:7], v[6:7], v[138:139]                    // 0000000056F8: D3B14006 18031506
	v_pk_mul_f32 v[4:5], v[4:5], s[60:61]                      // 000000005700: D3B14004 18007904
	v_pk_mul_f32 v[6:7], v[6:7], s[60:61]                      // 000000005708: D3B14006 18007906
	v_exp_f32_e32 v4, v4                                       // 000000005710: 7E084104
	v_exp_f32_e32 v5, v5                                       // 000000005714: 7E0A4105
	v_exp_f32_e32 v6, v6                                       // 000000005718: 7E0C4106
	v_exp_f32_e32 v7, v7                                       // 00000000571C: 7E0E4107
	v_add_f32_e64 v4, v4, 1.0                                  // 000000005720: D1010004 0001E504
	v_add_f32_e64 v5, v5, 1.0                                  // 000000005728: D1010005 0001E505
	v_add_f32_e64 v6, v6, 1.0                                  // 000000005730: D1010006 0001E506
	v_add_f32_e64 v7, v7, 1.0                                  // 000000005738: D1010007 0001E507
	v_rcp_f32_e32 v4, v4                                       // 000000005740: 7E084504
	v_rcp_f32_e32 v5, v5                                       // 000000005744: 7E0A4505
	v_rcp_f32_e32 v6, v6                                       // 000000005748: 7E0C4506
	v_rcp_f32_e32 v7, v7                                       // 00000000574C: 7E0E4507
	v_mul_f32_e32 v136, v136, v4                               // 000000005750: 0B100988
	v_mul_f32_e32 v137, v137, v5                               // 000000005754: 0B120B89
	v_mul_f32_e32 v138, v138, v6                               // 000000005758: 0B140D8A
	v_mul_f32_e32 v139, v139, v7                               // 00000000575C: 0B160F8B
	v_mul_f32_e32 v136, v136, v216                             // 000000005760: 0B11B188
	v_mul_f32_e32 v137, v137, v217                             // 000000005764: 0B13B389
	v_mul_f32_e32 v138, v138, v218                             // 000000005768: 0B15B58A
	v_mul_f32_e32 v139, v139, v219                             // 00000000576C: 0B17B78B
	v_pk_mul_f32 v[4:5], v[140:141], v[140:141]                // 000000005770: D3B14004 1803198C
	v_pk_mul_f32 v[6:7], v[142:143], v[142:143]                // 000000005778: D3B14006 18031D8E
	v_pk_fma_f32 v[4:5], v[4:5], s[78:79], v[8:9]              // 000000005780: D3B04004 1C209D04
	v_pk_fma_f32 v[6:7], v[6:7], s[78:79], v[8:9]              // 000000005788: D3B04006 1C209D06
	v_pk_mul_f32 v[4:5], v[4:5], v[140:141]                    // 000000005790: D3B14004 18031904
	v_pk_mul_f32 v[6:7], v[6:7], v[142:143]                    // 000000005798: D3B14006 18031D06
	v_pk_mul_f32 v[4:5], v[4:5], s[60:61]                      // 0000000057A0: D3B14004 18007904
	v_pk_mul_f32 v[6:7], v[6:7], s[60:61]                      // 0000000057A8: D3B14006 18007906
	v_exp_f32_e32 v4, v4                                       // 0000000057B0: 7E084104
	v_exp_f32_e32 v5, v5                                       // 0000000057B4: 7E0A4105
	v_exp_f32_e32 v6, v6                                       // 0000000057B8: 7E0C4106
	v_exp_f32_e32 v7, v7                                       // 0000000057BC: 7E0E4107
	v_add_f32_e64 v4, v4, 1.0                                  // 0000000057C0: D1010004 0001E504
	v_add_f32_e64 v5, v5, 1.0                                  // 0000000057C8: D1010005 0001E505
	v_add_f32_e64 v6, v6, 1.0                                  // 0000000057D0: D1010006 0001E506
	v_add_f32_e64 v7, v7, 1.0                                  // 0000000057D8: D1010007 0001E507
	v_rcp_f32_e32 v4, v4                                       // 0000000057E0: 7E084504
	v_rcp_f32_e32 v5, v5                                       // 0000000057E4: 7E0A4505
	v_rcp_f32_e32 v6, v6                                       // 0000000057E8: 7E0C4506
	v_rcp_f32_e32 v7, v7                                       // 0000000057EC: 7E0E4507
	v_mul_f32_e32 v140, v140, v4                               // 0000000057F0: 0B18098C
	v_mul_f32_e32 v141, v141, v5                               // 0000000057F4: 0B1A0B8D
	v_mul_f32_e32 v142, v142, v6                               // 0000000057F8: 0B1C0D8E
	v_mul_f32_e32 v143, v143, v7                               // 0000000057FC: 0B1E0F8F
	v_mul_f32_e32 v140, v140, v220                             // 000000005800: 0B19B98C
	v_mul_f32_e32 v141, v141, v221                             // 000000005804: 0B1BBB8D
	v_mul_f32_e32 v142, v142, v222                             // 000000005808: 0B1DBD8E
	v_mul_f32_e32 v143, v143, v223                             // 00000000580C: 0B1FBF8F
	s_branch label_0E05                                        // 000000005810: BF820280

0000000000005814 <label_0B85>:
	v_mul_f32_e64 v4, -v64, s6                                 // 000000005814: D1050004 20000D40
	v_mul_f32_e64 v5, -v65, s6                                 // 00000000581C: D1050005 20000D41
	v_mul_f32_e64 v6, -v66, s6                                 // 000000005824: D1050006 20000D42
	v_mul_f32_e64 v7, -v67, s6                                 // 00000000582C: D1050007 20000D43
	v_exp_f32_e32 v4, v4                                       // 000000005834: 7E084104
	v_exp_f32_e32 v5, v5                                       // 000000005838: 7E0A4105
	v_exp_f32_e32 v6, v6                                       // 00000000583C: 7E0C4106
	v_exp_f32_e32 v7, v7                                       // 000000005840: 7E0E4107
	v_add_f32_e64 v4, v4, 1.0                                  // 000000005844: D1010004 0001E504
	v_add_f32_e64 v5, v5, 1.0                                  // 00000000584C: D1010005 0001E505
	v_add_f32_e64 v6, v6, 1.0                                  // 000000005854: D1010006 0001E506
	v_add_f32_e64 v7, v7, 1.0                                  // 00000000585C: D1010007 0001E507
	v_rcp_f32_e32 v4, v4                                       // 000000005864: 7E084504
	v_rcp_f32_e32 v5, v5                                       // 000000005868: 7E0A4505
	v_rcp_f32_e32 v6, v6                                       // 00000000586C: 7E0C4506
	v_rcp_f32_e32 v7, v7                                       // 000000005870: 7E0E4507
	v_mul_f32_e32 v64, v64, v4                                 // 000000005874: 0A800940
	v_mul_f32_e32 v65, v65, v5                                 // 000000005878: 0A820B41
	v_mul_f32_e32 v66, v66, v6                                 // 00000000587C: 0A840D42
	v_mul_f32_e32 v67, v67, v7                                 // 000000005880: 0A860F43
	v_mul_f32_e32 v64, v64, v144                               // 000000005884: 0A812140
	v_mul_f32_e32 v65, v65, v145                               // 000000005888: 0A832341
	v_mul_f32_e32 v66, v66, v146                               // 00000000588C: 0A852542
	v_mul_f32_e32 v67, v67, v147                               // 000000005890: 0A872743
	v_mul_f32_e64 v4, -v68, s6                                 // 000000005894: D1050004 20000D44
	v_mul_f32_e64 v5, -v69, s6                                 // 00000000589C: D1050005 20000D45
	v_mul_f32_e64 v6, -v70, s6                                 // 0000000058A4: D1050006 20000D46
	v_mul_f32_e64 v7, -v71, s6                                 // 0000000058AC: D1050007 20000D47
	v_exp_f32_e32 v4, v4                                       // 0000000058B4: 7E084104
	v_exp_f32_e32 v5, v5                                       // 0000000058B8: 7E0A4105
	v_exp_f32_e32 v6, v6                                       // 0000000058BC: 7E0C4106
	v_exp_f32_e32 v7, v7                                       // 0000000058C0: 7E0E4107
	v_add_f32_e64 v4, v4, 1.0                                  // 0000000058C4: D1010004 0001E504
	v_add_f32_e64 v5, v5, 1.0                                  // 0000000058CC: D1010005 0001E505
	v_add_f32_e64 v6, v6, 1.0                                  // 0000000058D4: D1010006 0001E506
	v_add_f32_e64 v7, v7, 1.0                                  // 0000000058DC: D1010007 0001E507
	v_rcp_f32_e32 v4, v4                                       // 0000000058E4: 7E084504
	v_rcp_f32_e32 v5, v5                                       // 0000000058E8: 7E0A4505
	v_rcp_f32_e32 v6, v6                                       // 0000000058EC: 7E0C4506
	v_rcp_f32_e32 v7, v7                                       // 0000000058F0: 7E0E4507
	v_mul_f32_e32 v68, v68, v4                                 // 0000000058F4: 0A880944
	v_mul_f32_e32 v69, v69, v5                                 // 0000000058F8: 0A8A0B45
	v_mul_f32_e32 v70, v70, v6                                 // 0000000058FC: 0A8C0D46
	v_mul_f32_e32 v71, v71, v7                                 // 000000005900: 0A8E0F47
	v_mul_f32_e32 v68, v68, v148                               // 000000005904: 0A892944
	v_mul_f32_e32 v69, v69, v149                               // 000000005908: 0A8B2B45
	v_mul_f32_e32 v70, v70, v150                               // 00000000590C: 0A8D2D46
	v_mul_f32_e32 v71, v71, v151                               // 000000005910: 0A8F2F47
	v_mul_f32_e64 v4, -v72, s6                                 // 000000005914: D1050004 20000D48
	v_mul_f32_e64 v5, -v73, s6                                 // 00000000591C: D1050005 20000D49
	v_mul_f32_e64 v6, -v74, s6                                 // 000000005924: D1050006 20000D4A
	v_mul_f32_e64 v7, -v75, s6                                 // 00000000592C: D1050007 20000D4B
	v_exp_f32_e32 v4, v4                                       // 000000005934: 7E084104
	v_exp_f32_e32 v5, v5                                       // 000000005938: 7E0A4105
	v_exp_f32_e32 v6, v6                                       // 00000000593C: 7E0C4106
	v_exp_f32_e32 v7, v7                                       // 000000005940: 7E0E4107
	v_add_f32_e64 v4, v4, 1.0                                  // 000000005944: D1010004 0001E504
	v_add_f32_e64 v5, v5, 1.0                                  // 00000000594C: D1010005 0001E505
	v_add_f32_e64 v6, v6, 1.0                                  // 000000005954: D1010006 0001E506
	v_add_f32_e64 v7, v7, 1.0                                  // 00000000595C: D1010007 0001E507
	v_rcp_f32_e32 v4, v4                                       // 000000005964: 7E084504
	v_rcp_f32_e32 v5, v5                                       // 000000005968: 7E0A4505
	v_rcp_f32_e32 v6, v6                                       // 00000000596C: 7E0C4506
	v_rcp_f32_e32 v7, v7                                       // 000000005970: 7E0E4507
	v_mul_f32_e32 v72, v72, v4                                 // 000000005974: 0A900948
	v_mul_f32_e32 v73, v73, v5                                 // 000000005978: 0A920B49
	v_mul_f32_e32 v74, v74, v6                                 // 00000000597C: 0A940D4A
	v_mul_f32_e32 v75, v75, v7                                 // 000000005980: 0A960F4B
	v_mul_f32_e32 v72, v72, v152                               // 000000005984: 0A913148
	v_mul_f32_e32 v73, v73, v153                               // 000000005988: 0A933349
	v_mul_f32_e32 v74, v74, v154                               // 00000000598C: 0A95354A
	v_mul_f32_e32 v75, v75, v155                               // 000000005990: 0A97374B
	v_mul_f32_e64 v4, -v76, s6                                 // 000000005994: D1050004 20000D4C
	v_mul_f32_e64 v5, -v77, s6                                 // 00000000599C: D1050005 20000D4D
	v_mul_f32_e64 v6, -v78, s6                                 // 0000000059A4: D1050006 20000D4E
	v_mul_f32_e64 v7, -v79, s6                                 // 0000000059AC: D1050007 20000D4F
	v_exp_f32_e32 v4, v4                                       // 0000000059B4: 7E084104
	v_exp_f32_e32 v5, v5                                       // 0000000059B8: 7E0A4105
	v_exp_f32_e32 v6, v6                                       // 0000000059BC: 7E0C4106
	v_exp_f32_e32 v7, v7                                       // 0000000059C0: 7E0E4107
	v_add_f32_e64 v4, v4, 1.0                                  // 0000000059C4: D1010004 0001E504
	v_add_f32_e64 v5, v5, 1.0                                  // 0000000059CC: D1010005 0001E505
	v_add_f32_e64 v6, v6, 1.0                                  // 0000000059D4: D1010006 0001E506
	v_add_f32_e64 v7, v7, 1.0                                  // 0000000059DC: D1010007 0001E507
	v_rcp_f32_e32 v4, v4                                       // 0000000059E4: 7E084504
	v_rcp_f32_e32 v5, v5                                       // 0000000059E8: 7E0A4505
	v_rcp_f32_e32 v6, v6                                       // 0000000059EC: 7E0C4506
	v_rcp_f32_e32 v7, v7                                       // 0000000059F0: 7E0E4507
	v_mul_f32_e32 v76, v76, v4                                 // 0000000059F4: 0A98094C
	v_mul_f32_e32 v77, v77, v5                                 // 0000000059F8: 0A9A0B4D
	v_mul_f32_e32 v78, v78, v6                                 // 0000000059FC: 0A9C0D4E
	v_mul_f32_e32 v79, v79, v7                                 // 000000005A00: 0A9E0F4F
	v_mul_f32_e32 v76, v76, v156                               // 000000005A04: 0A99394C
	v_mul_f32_e32 v77, v77, v157                               // 000000005A08: 0A9B3B4D
	v_mul_f32_e32 v78, v78, v158                               // 000000005A0C: 0A9D3D4E
	v_mul_f32_e32 v79, v79, v159                               // 000000005A10: 0A9F3F4F
	v_mul_f32_e64 v4, -v80, s6                                 // 000000005A14: D1050004 20000D50
	v_mul_f32_e64 v5, -v81, s6                                 // 000000005A1C: D1050005 20000D51
	v_mul_f32_e64 v6, -v82, s6                                 // 000000005A24: D1050006 20000D52
	v_mul_f32_e64 v7, -v83, s6                                 // 000000005A2C: D1050007 20000D53
	v_exp_f32_e32 v4, v4                                       // 000000005A34: 7E084104
	v_exp_f32_e32 v5, v5                                       // 000000005A38: 7E0A4105
	v_exp_f32_e32 v6, v6                                       // 000000005A3C: 7E0C4106
	v_exp_f32_e32 v7, v7                                       // 000000005A40: 7E0E4107
	v_add_f32_e64 v4, v4, 1.0                                  // 000000005A44: D1010004 0001E504
	v_add_f32_e64 v5, v5, 1.0                                  // 000000005A4C: D1010005 0001E505
	v_add_f32_e64 v6, v6, 1.0                                  // 000000005A54: D1010006 0001E506
	v_add_f32_e64 v7, v7, 1.0                                  // 000000005A5C: D1010007 0001E507
	v_rcp_f32_e32 v4, v4                                       // 000000005A64: 7E084504
	v_rcp_f32_e32 v5, v5                                       // 000000005A68: 7E0A4505
	v_rcp_f32_e32 v6, v6                                       // 000000005A6C: 7E0C4506
	v_rcp_f32_e32 v7, v7                                       // 000000005A70: 7E0E4507
	v_mul_f32_e32 v80, v80, v4                                 // 000000005A74: 0AA00950
	v_mul_f32_e32 v81, v81, v5                                 // 000000005A78: 0AA20B51
	v_mul_f32_e32 v82, v82, v6                                 // 000000005A7C: 0AA40D52
	v_mul_f32_e32 v83, v83, v7                                 // 000000005A80: 0AA60F53
	v_mul_f32_e32 v80, v80, v160                               // 000000005A84: 0AA14150
	v_mul_f32_e32 v81, v81, v161                               // 000000005A88: 0AA34351
	v_mul_f32_e32 v82, v82, v162                               // 000000005A8C: 0AA54552
	v_mul_f32_e32 v83, v83, v163                               // 000000005A90: 0AA74753
	v_mul_f32_e64 v4, -v84, s6                                 // 000000005A94: D1050004 20000D54
	v_mul_f32_e64 v5, -v85, s6                                 // 000000005A9C: D1050005 20000D55
	v_mul_f32_e64 v6, -v86, s6                                 // 000000005AA4: D1050006 20000D56
	v_mul_f32_e64 v7, -v87, s6                                 // 000000005AAC: D1050007 20000D57
	v_exp_f32_e32 v4, v4                                       // 000000005AB4: 7E084104
	v_exp_f32_e32 v5, v5                                       // 000000005AB8: 7E0A4105
	v_exp_f32_e32 v6, v6                                       // 000000005ABC: 7E0C4106
	v_exp_f32_e32 v7, v7                                       // 000000005AC0: 7E0E4107
	v_add_f32_e64 v4, v4, 1.0                                  // 000000005AC4: D1010004 0001E504
	v_add_f32_e64 v5, v5, 1.0                                  // 000000005ACC: D1010005 0001E505
	v_add_f32_e64 v6, v6, 1.0                                  // 000000005AD4: D1010006 0001E506
	v_add_f32_e64 v7, v7, 1.0                                  // 000000005ADC: D1010007 0001E507
	v_rcp_f32_e32 v4, v4                                       // 000000005AE4: 7E084504
	v_rcp_f32_e32 v5, v5                                       // 000000005AE8: 7E0A4505
	v_rcp_f32_e32 v6, v6                                       // 000000005AEC: 7E0C4506
	v_rcp_f32_e32 v7, v7                                       // 000000005AF0: 7E0E4507
	v_mul_f32_e32 v84, v84, v4                                 // 000000005AF4: 0AA80954
	v_mul_f32_e32 v85, v85, v5                                 // 000000005AF8: 0AAA0B55
	v_mul_f32_e32 v86, v86, v6                                 // 000000005AFC: 0AAC0D56
	v_mul_f32_e32 v87, v87, v7                                 // 000000005B00: 0AAE0F57
	v_mul_f32_e32 v84, v84, v164                               // 000000005B04: 0AA94954
	v_mul_f32_e32 v85, v85, v165                               // 000000005B08: 0AAB4B55
	v_mul_f32_e32 v86, v86, v166                               // 000000005B0C: 0AAD4D56
	v_mul_f32_e32 v87, v87, v167                               // 000000005B10: 0AAF4F57
	v_mul_f32_e64 v4, -v88, s6                                 // 000000005B14: D1050004 20000D58
	v_mul_f32_e64 v5, -v89, s6                                 // 000000005B1C: D1050005 20000D59
	v_mul_f32_e64 v6, -v90, s6                                 // 000000005B24: D1050006 20000D5A
	v_mul_f32_e64 v7, -v91, s6                                 // 000000005B2C: D1050007 20000D5B
	v_exp_f32_e32 v4, v4                                       // 000000005B34: 7E084104
	v_exp_f32_e32 v5, v5                                       // 000000005B38: 7E0A4105
	v_exp_f32_e32 v6, v6                                       // 000000005B3C: 7E0C4106
	v_exp_f32_e32 v7, v7                                       // 000000005B40: 7E0E4107
	v_add_f32_e64 v4, v4, 1.0                                  // 000000005B44: D1010004 0001E504
	v_add_f32_e64 v5, v5, 1.0                                  // 000000005B4C: D1010005 0001E505
	v_add_f32_e64 v6, v6, 1.0                                  // 000000005B54: D1010006 0001E506
	v_add_f32_e64 v7, v7, 1.0                                  // 000000005B5C: D1010007 0001E507
	v_rcp_f32_e32 v4, v4                                       // 000000005B64: 7E084504
	v_rcp_f32_e32 v5, v5                                       // 000000005B68: 7E0A4505
	v_rcp_f32_e32 v6, v6                                       // 000000005B6C: 7E0C4506
	v_rcp_f32_e32 v7, v7                                       // 000000005B70: 7E0E4507
	v_mul_f32_e32 v88, v88, v4                                 // 000000005B74: 0AB00958
	v_mul_f32_e32 v89, v89, v5                                 // 000000005B78: 0AB20B59
	v_mul_f32_e32 v90, v90, v6                                 // 000000005B7C: 0AB40D5A
	v_mul_f32_e32 v91, v91, v7                                 // 000000005B80: 0AB60F5B
	v_mul_f32_e32 v88, v88, v168                               // 000000005B84: 0AB15158
	v_mul_f32_e32 v89, v89, v169                               // 000000005B88: 0AB35359
	v_mul_f32_e32 v90, v90, v170                               // 000000005B8C: 0AB5555A
	v_mul_f32_e32 v91, v91, v171                               // 000000005B90: 0AB7575B
	v_mul_f32_e64 v4, -v92, s6                                 // 000000005B94: D1050004 20000D5C
	v_mul_f32_e64 v5, -v93, s6                                 // 000000005B9C: D1050005 20000D5D
	v_mul_f32_e64 v6, -v94, s6                                 // 000000005BA4: D1050006 20000D5E
	v_mul_f32_e64 v7, -v95, s6                                 // 000000005BAC: D1050007 20000D5F
	v_exp_f32_e32 v4, v4                                       // 000000005BB4: 7E084104
	v_exp_f32_e32 v5, v5                                       // 000000005BB8: 7E0A4105
	v_exp_f32_e32 v6, v6                                       // 000000005BBC: 7E0C4106
	v_exp_f32_e32 v7, v7                                       // 000000005BC0: 7E0E4107
	v_add_f32_e64 v4, v4, 1.0                                  // 000000005BC4: D1010004 0001E504
	v_add_f32_e64 v5, v5, 1.0                                  // 000000005BCC: D1010005 0001E505
	v_add_f32_e64 v6, v6, 1.0                                  // 000000005BD4: D1010006 0001E506
	v_add_f32_e64 v7, v7, 1.0                                  // 000000005BDC: D1010007 0001E507
	v_rcp_f32_e32 v4, v4                                       // 000000005BE4: 7E084504
	v_rcp_f32_e32 v5, v5                                       // 000000005BE8: 7E0A4505
	v_rcp_f32_e32 v6, v6                                       // 000000005BEC: 7E0C4506
	v_rcp_f32_e32 v7, v7                                       // 000000005BF0: 7E0E4507
	v_mul_f32_e32 v92, v92, v4                                 // 000000005BF4: 0AB8095C
	v_mul_f32_e32 v93, v93, v5                                 // 000000005BF8: 0ABA0B5D
	v_mul_f32_e32 v94, v94, v6                                 // 000000005BFC: 0ABC0D5E
	v_mul_f32_e32 v95, v95, v7                                 // 000000005C00: 0ABE0F5F
	v_mul_f32_e32 v92, v92, v172                               // 000000005C04: 0AB9595C
	v_mul_f32_e32 v93, v93, v173                               // 000000005C08: 0ABB5B5D
	v_mul_f32_e32 v94, v94, v174                               // 000000005C0C: 0ABD5D5E
	v_mul_f32_e32 v95, v95, v175                               // 000000005C10: 0ABF5F5F
	v_mul_f32_e64 v4, -v96, s6                                 // 000000005C14: D1050004 20000D60
	v_mul_f32_e64 v5, -v97, s6                                 // 000000005C1C: D1050005 20000D61
	v_mul_f32_e64 v6, -v98, s6                                 // 000000005C24: D1050006 20000D62
	v_mul_f32_e64 v7, -v99, s6                                 // 000000005C2C: D1050007 20000D63
	v_exp_f32_e32 v4, v4                                       // 000000005C34: 7E084104
	v_exp_f32_e32 v5, v5                                       // 000000005C38: 7E0A4105
	v_exp_f32_e32 v6, v6                                       // 000000005C3C: 7E0C4106
	v_exp_f32_e32 v7, v7                                       // 000000005C40: 7E0E4107
	v_add_f32_e64 v4, v4, 1.0                                  // 000000005C44: D1010004 0001E504
	v_add_f32_e64 v5, v5, 1.0                                  // 000000005C4C: D1010005 0001E505
	v_add_f32_e64 v6, v6, 1.0                                  // 000000005C54: D1010006 0001E506
	v_add_f32_e64 v7, v7, 1.0                                  // 000000005C5C: D1010007 0001E507
	v_rcp_f32_e32 v4, v4                                       // 000000005C64: 7E084504
	v_rcp_f32_e32 v5, v5                                       // 000000005C68: 7E0A4505
	v_rcp_f32_e32 v6, v6                                       // 000000005C6C: 7E0C4506
	v_rcp_f32_e32 v7, v7                                       // 000000005C70: 7E0E4507
	v_mul_f32_e32 v96, v96, v4                                 // 000000005C74: 0AC00960
	v_mul_f32_e32 v97, v97, v5                                 // 000000005C78: 0AC20B61
	v_mul_f32_e32 v98, v98, v6                                 // 000000005C7C: 0AC40D62
	v_mul_f32_e32 v99, v99, v7                                 // 000000005C80: 0AC60F63
	v_mul_f32_e32 v96, v96, v176                               // 000000005C84: 0AC16160
	v_mul_f32_e32 v97, v97, v177                               // 000000005C88: 0AC36361
	v_mul_f32_e32 v98, v98, v178                               // 000000005C8C: 0AC56562
	v_mul_f32_e32 v99, v99, v179                               // 000000005C90: 0AC76763
	v_mul_f32_e64 v4, -v100, s6                                // 000000005C94: D1050004 20000D64
	v_mul_f32_e64 v5, -v101, s6                                // 000000005C9C: D1050005 20000D65
	v_mul_f32_e64 v6, -v102, s6                                // 000000005CA4: D1050006 20000D66
	v_mul_f32_e64 v7, -v103, s6                                // 000000005CAC: D1050007 20000D67
	v_exp_f32_e32 v4, v4                                       // 000000005CB4: 7E084104
	v_exp_f32_e32 v5, v5                                       // 000000005CB8: 7E0A4105
	v_exp_f32_e32 v6, v6                                       // 000000005CBC: 7E0C4106
	v_exp_f32_e32 v7, v7                                       // 000000005CC0: 7E0E4107
	v_add_f32_e64 v4, v4, 1.0                                  // 000000005CC4: D1010004 0001E504
	v_add_f32_e64 v5, v5, 1.0                                  // 000000005CCC: D1010005 0001E505
	v_add_f32_e64 v6, v6, 1.0                                  // 000000005CD4: D1010006 0001E506
	v_add_f32_e64 v7, v7, 1.0                                  // 000000005CDC: D1010007 0001E507
	v_rcp_f32_e32 v4, v4                                       // 000000005CE4: 7E084504
	v_rcp_f32_e32 v5, v5                                       // 000000005CE8: 7E0A4505
	v_rcp_f32_e32 v6, v6                                       // 000000005CEC: 7E0C4506
	v_rcp_f32_e32 v7, v7                                       // 000000005CF0: 7E0E4507
	v_mul_f32_e32 v100, v100, v4                               // 000000005CF4: 0AC80964
	v_mul_f32_e32 v101, v101, v5                               // 000000005CF8: 0ACA0B65
	v_mul_f32_e32 v102, v102, v6                               // 000000005CFC: 0ACC0D66
	v_mul_f32_e32 v103, v103, v7                               // 000000005D00: 0ACE0F67
	v_mul_f32_e32 v100, v100, v180                             // 000000005D04: 0AC96964
	v_mul_f32_e32 v101, v101, v181                             // 000000005D08: 0ACB6B65
	v_mul_f32_e32 v102, v102, v182                             // 000000005D0C: 0ACD6D66
	v_mul_f32_e32 v103, v103, v183                             // 000000005D10: 0ACF6F67
	v_mul_f32_e64 v4, -v104, s6                                // 000000005D14: D1050004 20000D68
	v_mul_f32_e64 v5, -v105, s6                                // 000000005D1C: D1050005 20000D69
	v_mul_f32_e64 v6, -v106, s6                                // 000000005D24: D1050006 20000D6A
	v_mul_f32_e64 v7, -v107, s6                                // 000000005D2C: D1050007 20000D6B
	v_exp_f32_e32 v4, v4                                       // 000000005D34: 7E084104
	v_exp_f32_e32 v5, v5                                       // 000000005D38: 7E0A4105
	v_exp_f32_e32 v6, v6                                       // 000000005D3C: 7E0C4106
	v_exp_f32_e32 v7, v7                                       // 000000005D40: 7E0E4107
	v_add_f32_e64 v4, v4, 1.0                                  // 000000005D44: D1010004 0001E504
	v_add_f32_e64 v5, v5, 1.0                                  // 000000005D4C: D1010005 0001E505
	v_add_f32_e64 v6, v6, 1.0                                  // 000000005D54: D1010006 0001E506
	v_add_f32_e64 v7, v7, 1.0                                  // 000000005D5C: D1010007 0001E507
	v_rcp_f32_e32 v4, v4                                       // 000000005D64: 7E084504
	v_rcp_f32_e32 v5, v5                                       // 000000005D68: 7E0A4505
	v_rcp_f32_e32 v6, v6                                       // 000000005D6C: 7E0C4506
	v_rcp_f32_e32 v7, v7                                       // 000000005D70: 7E0E4507
	v_mul_f32_e32 v104, v104, v4                               // 000000005D74: 0AD00968
	v_mul_f32_e32 v105, v105, v5                               // 000000005D78: 0AD20B69
	v_mul_f32_e32 v106, v106, v6                               // 000000005D7C: 0AD40D6A
	v_mul_f32_e32 v107, v107, v7                               // 000000005D80: 0AD60F6B
	v_mul_f32_e32 v104, v104, v184                             // 000000005D84: 0AD17168
	v_mul_f32_e32 v105, v105, v185                             // 000000005D88: 0AD37369
	v_mul_f32_e32 v106, v106, v186                             // 000000005D8C: 0AD5756A
	v_mul_f32_e32 v107, v107, v187                             // 000000005D90: 0AD7776B
	v_mul_f32_e64 v4, -v108, s6                                // 000000005D94: D1050004 20000D6C
	v_mul_f32_e64 v5, -v109, s6                                // 000000005D9C: D1050005 20000D6D
	v_mul_f32_e64 v6, -v110, s6                                // 000000005DA4: D1050006 20000D6E
	v_mul_f32_e64 v7, -v111, s6                                // 000000005DAC: D1050007 20000D6F
	v_exp_f32_e32 v4, v4                                       // 000000005DB4: 7E084104
	v_exp_f32_e32 v5, v5                                       // 000000005DB8: 7E0A4105
	v_exp_f32_e32 v6, v6                                       // 000000005DBC: 7E0C4106
	v_exp_f32_e32 v7, v7                                       // 000000005DC0: 7E0E4107
	v_add_f32_e64 v4, v4, 1.0                                  // 000000005DC4: D1010004 0001E504
	v_add_f32_e64 v5, v5, 1.0                                  // 000000005DCC: D1010005 0001E505
	v_add_f32_e64 v6, v6, 1.0                                  // 000000005DD4: D1010006 0001E506
	v_add_f32_e64 v7, v7, 1.0                                  // 000000005DDC: D1010007 0001E507
	v_rcp_f32_e32 v4, v4                                       // 000000005DE4: 7E084504
	v_rcp_f32_e32 v5, v5                                       // 000000005DE8: 7E0A4505
	v_rcp_f32_e32 v6, v6                                       // 000000005DEC: 7E0C4506
	v_rcp_f32_e32 v7, v7                                       // 000000005DF0: 7E0E4507
	v_mul_f32_e32 v108, v108, v4                               // 000000005DF4: 0AD8096C
	v_mul_f32_e32 v109, v109, v5                               // 000000005DF8: 0ADA0B6D
	v_mul_f32_e32 v110, v110, v6                               // 000000005DFC: 0ADC0D6E
	v_mul_f32_e32 v111, v111, v7                               // 000000005E00: 0ADE0F6F
	v_mul_f32_e32 v108, v108, v188                             // 000000005E04: 0AD9796C
	v_mul_f32_e32 v109, v109, v189                             // 000000005E08: 0ADB7B6D
	v_mul_f32_e32 v110, v110, v190                             // 000000005E0C: 0ADD7D6E
	v_mul_f32_e32 v111, v111, v191                             // 000000005E10: 0ADF7F6F
	v_mul_f32_e64 v4, -v112, s6                                // 000000005E14: D1050004 20000D70
	v_mul_f32_e64 v5, -v113, s6                                // 000000005E1C: D1050005 20000D71
	v_mul_f32_e64 v6, -v114, s6                                // 000000005E24: D1050006 20000D72
	v_mul_f32_e64 v7, -v115, s6                                // 000000005E2C: D1050007 20000D73
	v_exp_f32_e32 v4, v4                                       // 000000005E34: 7E084104
	v_exp_f32_e32 v5, v5                                       // 000000005E38: 7E0A4105
	v_exp_f32_e32 v6, v6                                       // 000000005E3C: 7E0C4106
	v_exp_f32_e32 v7, v7                                       // 000000005E40: 7E0E4107
	v_add_f32_e64 v4, v4, 1.0                                  // 000000005E44: D1010004 0001E504
	v_add_f32_e64 v5, v5, 1.0                                  // 000000005E4C: D1010005 0001E505
	v_add_f32_e64 v6, v6, 1.0                                  // 000000005E54: D1010006 0001E506
	v_add_f32_e64 v7, v7, 1.0                                  // 000000005E5C: D1010007 0001E507
	v_rcp_f32_e32 v4, v4                                       // 000000005E64: 7E084504
	v_rcp_f32_e32 v5, v5                                       // 000000005E68: 7E0A4505
	v_rcp_f32_e32 v6, v6                                       // 000000005E6C: 7E0C4506
	v_rcp_f32_e32 v7, v7                                       // 000000005E70: 7E0E4507
	v_mul_f32_e32 v112, v112, v4                               // 000000005E74: 0AE00970
	v_mul_f32_e32 v113, v113, v5                               // 000000005E78: 0AE20B71
	v_mul_f32_e32 v114, v114, v6                               // 000000005E7C: 0AE40D72
	v_mul_f32_e32 v115, v115, v7                               // 000000005E80: 0AE60F73
	v_mul_f32_e32 v112, v112, v192                             // 000000005E84: 0AE18170
	v_mul_f32_e32 v113, v113, v193                             // 000000005E88: 0AE38371
	v_mul_f32_e32 v114, v114, v194                             // 000000005E8C: 0AE58572
	v_mul_f32_e32 v115, v115, v195                             // 000000005E90: 0AE78773
	v_mul_f32_e64 v4, -v116, s6                                // 000000005E94: D1050004 20000D74
	v_mul_f32_e64 v5, -v117, s6                                // 000000005E9C: D1050005 20000D75
	v_mul_f32_e64 v6, -v118, s6                                // 000000005EA4: D1050006 20000D76
	v_mul_f32_e64 v7, -v119, s6                                // 000000005EAC: D1050007 20000D77
	v_exp_f32_e32 v4, v4                                       // 000000005EB4: 7E084104
	v_exp_f32_e32 v5, v5                                       // 000000005EB8: 7E0A4105
	v_exp_f32_e32 v6, v6                                       // 000000005EBC: 7E0C4106
	v_exp_f32_e32 v7, v7                                       // 000000005EC0: 7E0E4107
	v_add_f32_e64 v4, v4, 1.0                                  // 000000005EC4: D1010004 0001E504
	v_add_f32_e64 v5, v5, 1.0                                  // 000000005ECC: D1010005 0001E505
	v_add_f32_e64 v6, v6, 1.0                                  // 000000005ED4: D1010006 0001E506
	v_add_f32_e64 v7, v7, 1.0                                  // 000000005EDC: D1010007 0001E507
	v_rcp_f32_e32 v4, v4                                       // 000000005EE4: 7E084504
	v_rcp_f32_e32 v5, v5                                       // 000000005EE8: 7E0A4505
	v_rcp_f32_e32 v6, v6                                       // 000000005EEC: 7E0C4506
	v_rcp_f32_e32 v7, v7                                       // 000000005EF0: 7E0E4507
	v_mul_f32_e32 v116, v116, v4                               // 000000005EF4: 0AE80974
	v_mul_f32_e32 v117, v117, v5                               // 000000005EF8: 0AEA0B75
	v_mul_f32_e32 v118, v118, v6                               // 000000005EFC: 0AEC0D76
	v_mul_f32_e32 v119, v119, v7                               // 000000005F00: 0AEE0F77
	v_mul_f32_e32 v116, v116, v196                             // 000000005F04: 0AE98974
	v_mul_f32_e32 v117, v117, v197                             // 000000005F08: 0AEB8B75
	v_mul_f32_e32 v118, v118, v198                             // 000000005F0C: 0AED8D76
	v_mul_f32_e32 v119, v119, v199                             // 000000005F10: 0AEF8F77
	v_mul_f32_e64 v4, -v120, s6                                // 000000005F14: D1050004 20000D78
	v_mul_f32_e64 v5, -v121, s6                                // 000000005F1C: D1050005 20000D79
	v_mul_f32_e64 v6, -v122, s6                                // 000000005F24: D1050006 20000D7A
	v_mul_f32_e64 v7, -v123, s6                                // 000000005F2C: D1050007 20000D7B
	v_exp_f32_e32 v4, v4                                       // 000000005F34: 7E084104
	v_exp_f32_e32 v5, v5                                       // 000000005F38: 7E0A4105
	v_exp_f32_e32 v6, v6                                       // 000000005F3C: 7E0C4106
	v_exp_f32_e32 v7, v7                                       // 000000005F40: 7E0E4107
	v_add_f32_e64 v4, v4, 1.0                                  // 000000005F44: D1010004 0001E504
	v_add_f32_e64 v5, v5, 1.0                                  // 000000005F4C: D1010005 0001E505
	v_add_f32_e64 v6, v6, 1.0                                  // 000000005F54: D1010006 0001E506
	v_add_f32_e64 v7, v7, 1.0                                  // 000000005F5C: D1010007 0001E507
	v_rcp_f32_e32 v4, v4                                       // 000000005F64: 7E084504
	v_rcp_f32_e32 v5, v5                                       // 000000005F68: 7E0A4505
	v_rcp_f32_e32 v6, v6                                       // 000000005F6C: 7E0C4506
	v_rcp_f32_e32 v7, v7                                       // 000000005F70: 7E0E4507
	v_mul_f32_e32 v120, v120, v4                               // 000000005F74: 0AF00978
	v_mul_f32_e32 v121, v121, v5                               // 000000005F78: 0AF20B79
	v_mul_f32_e32 v122, v122, v6                               // 000000005F7C: 0AF40D7A
	v_mul_f32_e32 v123, v123, v7                               // 000000005F80: 0AF60F7B
	v_mul_f32_e32 v120, v120, v200                             // 000000005F84: 0AF19178
	v_mul_f32_e32 v121, v121, v201                             // 000000005F88: 0AF39379
	v_mul_f32_e32 v122, v122, v202                             // 000000005F8C: 0AF5957A
	v_mul_f32_e32 v123, v123, v203                             // 000000005F90: 0AF7977B
	v_mul_f32_e64 v4, -v124, s6                                // 000000005F94: D1050004 20000D7C
	v_mul_f32_e64 v5, -v125, s6                                // 000000005F9C: D1050005 20000D7D
	v_mul_f32_e64 v6, -v126, s6                                // 000000005FA4: D1050006 20000D7E
	v_mul_f32_e64 v7, -v127, s6                                // 000000005FAC: D1050007 20000D7F
	v_exp_f32_e32 v4, v4                                       // 000000005FB4: 7E084104
	v_exp_f32_e32 v5, v5                                       // 000000005FB8: 7E0A4105
	v_exp_f32_e32 v6, v6                                       // 000000005FBC: 7E0C4106
	v_exp_f32_e32 v7, v7                                       // 000000005FC0: 7E0E4107
	v_add_f32_e64 v4, v4, 1.0                                  // 000000005FC4: D1010004 0001E504
	v_add_f32_e64 v5, v5, 1.0                                  // 000000005FCC: D1010005 0001E505
	v_add_f32_e64 v6, v6, 1.0                                  // 000000005FD4: D1010006 0001E506
	v_add_f32_e64 v7, v7, 1.0                                  // 000000005FDC: D1010007 0001E507
	v_rcp_f32_e32 v4, v4                                       // 000000005FE4: 7E084504
	v_rcp_f32_e32 v5, v5                                       // 000000005FE8: 7E0A4505
	v_rcp_f32_e32 v6, v6                                       // 000000005FEC: 7E0C4506
	v_rcp_f32_e32 v7, v7                                       // 000000005FF0: 7E0E4507
	v_mul_f32_e32 v124, v124, v4                               // 000000005FF4: 0AF8097C
	v_mul_f32_e32 v125, v125, v5                               // 000000005FF8: 0AFA0B7D
	v_mul_f32_e32 v126, v126, v6                               // 000000005FFC: 0AFC0D7E
	v_mul_f32_e32 v127, v127, v7                               // 000000006000: 0AFE0F7F
	v_mul_f32_e32 v124, v124, v204                             // 000000006004: 0AF9997C
	v_mul_f32_e32 v125, v125, v205                             // 000000006008: 0AFB9B7D
	v_mul_f32_e32 v126, v126, v206                             // 00000000600C: 0AFD9D7E
	v_mul_f32_e32 v127, v127, v207                             // 000000006010: 0AFF9F7F
	v_mul_f32_e64 v4, -v128, s6                                // 000000006014: D1050004 20000D80
	v_mul_f32_e64 v5, -v129, s6                                // 00000000601C: D1050005 20000D81
	v_mul_f32_e64 v6, -v130, s6                                // 000000006024: D1050006 20000D82
	v_mul_f32_e64 v7, -v131, s6                                // 00000000602C: D1050007 20000D83
	v_exp_f32_e32 v4, v4                                       // 000000006034: 7E084104
	v_exp_f32_e32 v5, v5                                       // 000000006038: 7E0A4105
	v_exp_f32_e32 v6, v6                                       // 00000000603C: 7E0C4106
	v_exp_f32_e32 v7, v7                                       // 000000006040: 7E0E4107
	v_add_f32_e64 v4, v4, 1.0                                  // 000000006044: D1010004 0001E504
	v_add_f32_e64 v5, v5, 1.0                                  // 00000000604C: D1010005 0001E505
	v_add_f32_e64 v6, v6, 1.0                                  // 000000006054: D1010006 0001E506
	v_add_f32_e64 v7, v7, 1.0                                  // 00000000605C: D1010007 0001E507
	v_rcp_f32_e32 v4, v4                                       // 000000006064: 7E084504
	v_rcp_f32_e32 v5, v5                                       // 000000006068: 7E0A4505
	v_rcp_f32_e32 v6, v6                                       // 00000000606C: 7E0C4506
	v_rcp_f32_e32 v7, v7                                       // 000000006070: 7E0E4507
	v_mul_f32_e32 v128, v128, v4                               // 000000006074: 0B000980
	v_mul_f32_e32 v129, v129, v5                               // 000000006078: 0B020B81
	v_mul_f32_e32 v130, v130, v6                               // 00000000607C: 0B040D82
	v_mul_f32_e32 v131, v131, v7                               // 000000006080: 0B060F83
	v_mul_f32_e32 v128, v128, v208                             // 000000006084: 0B01A180
	v_mul_f32_e32 v129, v129, v209                             // 000000006088: 0B03A381
	v_mul_f32_e32 v130, v130, v210                             // 00000000608C: 0B05A582
	v_mul_f32_e32 v131, v131, v211                             // 000000006090: 0B07A783
	v_mul_f32_e64 v4, -v132, s6                                // 000000006094: D1050004 20000D84
	v_mul_f32_e64 v5, -v133, s6                                // 00000000609C: D1050005 20000D85
	v_mul_f32_e64 v6, -v134, s6                                // 0000000060A4: D1050006 20000D86
	v_mul_f32_e64 v7, -v135, s6                                // 0000000060AC: D1050007 20000D87
	v_exp_f32_e32 v4, v4                                       // 0000000060B4: 7E084104
	v_exp_f32_e32 v5, v5                                       // 0000000060B8: 7E0A4105
	v_exp_f32_e32 v6, v6                                       // 0000000060BC: 7E0C4106
	v_exp_f32_e32 v7, v7                                       // 0000000060C0: 7E0E4107
	v_add_f32_e64 v4, v4, 1.0                                  // 0000000060C4: D1010004 0001E504
	v_add_f32_e64 v5, v5, 1.0                                  // 0000000060CC: D1010005 0001E505
	v_add_f32_e64 v6, v6, 1.0                                  // 0000000060D4: D1010006 0001E506
	v_add_f32_e64 v7, v7, 1.0                                  // 0000000060DC: D1010007 0001E507
	v_rcp_f32_e32 v4, v4                                       // 0000000060E4: 7E084504
	v_rcp_f32_e32 v5, v5                                       // 0000000060E8: 7E0A4505
	v_rcp_f32_e32 v6, v6                                       // 0000000060EC: 7E0C4506
	v_rcp_f32_e32 v7, v7                                       // 0000000060F0: 7E0E4507
	v_mul_f32_e32 v132, v132, v4                               // 0000000060F4: 0B080984
	v_mul_f32_e32 v133, v133, v5                               // 0000000060F8: 0B0A0B85
	v_mul_f32_e32 v134, v134, v6                               // 0000000060FC: 0B0C0D86
	v_mul_f32_e32 v135, v135, v7                               // 000000006100: 0B0E0F87
	v_mul_f32_e32 v132, v132, v212                             // 000000006104: 0B09A984
	v_mul_f32_e32 v133, v133, v213                             // 000000006108: 0B0BAB85
	v_mul_f32_e32 v134, v134, v214                             // 00000000610C: 0B0DAD86
	v_mul_f32_e32 v135, v135, v215                             // 000000006110: 0B0FAF87
	v_mul_f32_e64 v4, -v136, s6                                // 000000006114: D1050004 20000D88
	v_mul_f32_e64 v5, -v137, s6                                // 00000000611C: D1050005 20000D89
	v_mul_f32_e64 v6, -v138, s6                                // 000000006124: D1050006 20000D8A
	v_mul_f32_e64 v7, -v139, s6                                // 00000000612C: D1050007 20000D8B
	v_exp_f32_e32 v4, v4                                       // 000000006134: 7E084104
	v_exp_f32_e32 v5, v5                                       // 000000006138: 7E0A4105
	v_exp_f32_e32 v6, v6                                       // 00000000613C: 7E0C4106
	v_exp_f32_e32 v7, v7                                       // 000000006140: 7E0E4107
	v_add_f32_e64 v4, v4, 1.0                                  // 000000006144: D1010004 0001E504
	v_add_f32_e64 v5, v5, 1.0                                  // 00000000614C: D1010005 0001E505
	v_add_f32_e64 v6, v6, 1.0                                  // 000000006154: D1010006 0001E506
	v_add_f32_e64 v7, v7, 1.0                                  // 00000000615C: D1010007 0001E507
	v_rcp_f32_e32 v4, v4                                       // 000000006164: 7E084504
	v_rcp_f32_e32 v5, v5                                       // 000000006168: 7E0A4505
	v_rcp_f32_e32 v6, v6                                       // 00000000616C: 7E0C4506
	v_rcp_f32_e32 v7, v7                                       // 000000006170: 7E0E4507
	v_mul_f32_e32 v136, v136, v4                               // 000000006174: 0B100988
	v_mul_f32_e32 v137, v137, v5                               // 000000006178: 0B120B89
	v_mul_f32_e32 v138, v138, v6                               // 00000000617C: 0B140D8A
	v_mul_f32_e32 v139, v139, v7                               // 000000006180: 0B160F8B
	v_mul_f32_e32 v136, v136, v216                             // 000000006184: 0B11B188
	v_mul_f32_e32 v137, v137, v217                             // 000000006188: 0B13B389
	v_mul_f32_e32 v138, v138, v218                             // 00000000618C: 0B15B58A
	v_mul_f32_e32 v139, v139, v219                             // 000000006190: 0B17B78B
	v_mul_f32_e64 v4, -v140, s6                                // 000000006194: D1050004 20000D8C
	v_mul_f32_e64 v5, -v141, s6                                // 00000000619C: D1050005 20000D8D
	v_mul_f32_e64 v6, -v142, s6                                // 0000000061A4: D1050006 20000D8E
	v_mul_f32_e64 v7, -v143, s6                                // 0000000061AC: D1050007 20000D8F
	v_exp_f32_e32 v4, v4                                       // 0000000061B4: 7E084104
	v_exp_f32_e32 v5, v5                                       // 0000000061B8: 7E0A4105
	v_exp_f32_e32 v6, v6                                       // 0000000061BC: 7E0C4106
	v_exp_f32_e32 v7, v7                                       // 0000000061C0: 7E0E4107
	v_add_f32_e64 v4, v4, 1.0                                  // 0000000061C4: D1010004 0001E504
	v_add_f32_e64 v5, v5, 1.0                                  // 0000000061CC: D1010005 0001E505
	v_add_f32_e64 v6, v6, 1.0                                  // 0000000061D4: D1010006 0001E506
	v_add_f32_e64 v7, v7, 1.0                                  // 0000000061DC: D1010007 0001E507
	v_rcp_f32_e32 v4, v4                                       // 0000000061E4: 7E084504
	v_rcp_f32_e32 v5, v5                                       // 0000000061E8: 7E0A4505
	v_rcp_f32_e32 v6, v6                                       // 0000000061EC: 7E0C4506
	v_rcp_f32_e32 v7, v7                                       // 0000000061F0: 7E0E4507
	v_mul_f32_e32 v140, v140, v4                               // 0000000061F4: 0B18098C
	v_mul_f32_e32 v141, v141, v5                               // 0000000061F8: 0B1A0B8D
	v_mul_f32_e32 v142, v142, v6                               // 0000000061FC: 0B1C0D8E
	v_mul_f32_e32 v143, v143, v7                               // 000000006200: 0B1E0F8F
	v_mul_f32_e32 v140, v140, v220                             // 000000006204: 0B19B98C
	v_mul_f32_e32 v141, v141, v221                             // 000000006208: 0B1BBB8D
	v_mul_f32_e32 v142, v142, v222                             // 00000000620C: 0B1DBD8E
	v_mul_f32_e32 v143, v143, v223                             // 000000006210: 0B1FBF8F

0000000000006214 <label_0E05>:
	v_cmp_u_f32_e64 s[46:47], v64, v64                         // 000000006214: D048002E 00028140
	v_add3_u32 v16, v64, v19, 1                                // 00000000621C: D1FF0010 02062740
	v_cndmask_b32_e64 v4, v16, v18, s[46:47]                   // 000000006224: D1000004 00BA2510
	v_cmp_u_f32_e64 s[46:47], v65, v65                         // 00000000622C: D048002E 00028341
	v_add3_u32 v16, v65, v19, 1                                // 000000006234: D1FF0010 02062741
	v_cndmask_b32_e64 v5, v16, v18, s[46:47]                   // 00000000623C: D1000005 00BA2510
	v_perm_b32 v64, v5, v4, s52                                // 000000006244: D1ED0040 00D20905
	v_cmp_u_f32_e64 s[46:47], v66, v66                         // 00000000624C: D048002E 00028542
	v_add3_u32 v16, v66, v19, 1                                // 000000006254: D1FF0010 02062742
	v_cndmask_b32_e64 v4, v16, v18, s[46:47]                   // 00000000625C: D1000004 00BA2510
	v_cmp_u_f32_e64 s[46:47], v67, v67                         // 000000006264: D048002E 00028743
	v_add3_u32 v16, v67, v19, 1                                // 00000000626C: D1FF0010 02062743
	v_cndmask_b32_e64 v5, v16, v18, s[46:47]                   // 000000006274: D1000005 00BA2510
	v_perm_b32 v65, v5, v4, s52                                // 00000000627C: D1ED0041 00D20905
	v_cmp_u_f32_e64 s[46:47], v68, v68                         // 000000006284: D048002E 00028944
	v_add3_u32 v16, v68, v19, 1                                // 00000000628C: D1FF0010 02062744
	v_cndmask_b32_e64 v4, v16, v18, s[46:47]                   // 000000006294: D1000004 00BA2510
	v_cmp_u_f32_e64 s[46:47], v69, v69                         // 00000000629C: D048002E 00028B45
	v_add3_u32 v16, v69, v19, 1                                // 0000000062A4: D1FF0010 02062745
	v_cndmask_b32_e64 v5, v16, v18, s[46:47]                   // 0000000062AC: D1000005 00BA2510
	v_perm_b32 v66, v5, v4, s52                                // 0000000062B4: D1ED0042 00D20905
	v_cmp_u_f32_e64 s[46:47], v70, v70                         // 0000000062BC: D048002E 00028D46
	v_add3_u32 v16, v70, v19, 1                                // 0000000062C4: D1FF0010 02062746
	v_cndmask_b32_e64 v4, v16, v18, s[46:47]                   // 0000000062CC: D1000004 00BA2510
	v_cmp_u_f32_e64 s[46:47], v71, v71                         // 0000000062D4: D048002E 00028F47
	v_add3_u32 v16, v71, v19, 1                                // 0000000062DC: D1FF0010 02062747
	v_cndmask_b32_e64 v5, v16, v18, s[46:47]                   // 0000000062E4: D1000005 00BA2510
	v_perm_b32 v67, v5, v4, s52                                // 0000000062EC: D1ED0043 00D20905
	v_cmp_u_f32_e64 s[46:47], v72, v72                         // 0000000062F4: D048002E 00029148
	v_add3_u32 v16, v72, v19, 1                                // 0000000062FC: D1FF0010 02062748
	v_cndmask_b32_e64 v4, v16, v18, s[46:47]                   // 000000006304: D1000004 00BA2510
	v_cmp_u_f32_e64 s[46:47], v73, v73                         // 00000000630C: D048002E 00029349
	v_add3_u32 v16, v73, v19, 1                                // 000000006314: D1FF0010 02062749
	v_cndmask_b32_e64 v5, v16, v18, s[46:47]                   // 00000000631C: D1000005 00BA2510
	v_perm_b32 v68, v5, v4, s52                                // 000000006324: D1ED0044 00D20905
	v_cmp_u_f32_e64 s[46:47], v74, v74                         // 00000000632C: D048002E 0002954A
	v_add3_u32 v16, v74, v19, 1                                // 000000006334: D1FF0010 0206274A
	v_cndmask_b32_e64 v4, v16, v18, s[46:47]                   // 00000000633C: D1000004 00BA2510
	v_cmp_u_f32_e64 s[46:47], v75, v75                         // 000000006344: D048002E 0002974B
	v_add3_u32 v16, v75, v19, 1                                // 00000000634C: D1FF0010 0206274B
	v_cndmask_b32_e64 v5, v16, v18, s[46:47]                   // 000000006354: D1000005 00BA2510
	v_perm_b32 v69, v5, v4, s52                                // 00000000635C: D1ED0045 00D20905
	v_cmp_u_f32_e64 s[46:47], v76, v76                         // 000000006364: D048002E 0002994C
	v_add3_u32 v16, v76, v19, 1                                // 00000000636C: D1FF0010 0206274C
	v_cndmask_b32_e64 v4, v16, v18, s[46:47]                   // 000000006374: D1000004 00BA2510
	v_cmp_u_f32_e64 s[46:47], v77, v77                         // 00000000637C: D048002E 00029B4D
	v_add3_u32 v16, v77, v19, 1                                // 000000006384: D1FF0010 0206274D
	v_cndmask_b32_e64 v5, v16, v18, s[46:47]                   // 00000000638C: D1000005 00BA2510
	v_perm_b32 v70, v5, v4, s52                                // 000000006394: D1ED0046 00D20905
	v_cmp_u_f32_e64 s[46:47], v78, v78                         // 00000000639C: D048002E 00029D4E
	v_add3_u32 v16, v78, v19, 1                                // 0000000063A4: D1FF0010 0206274E
	v_cndmask_b32_e64 v4, v16, v18, s[46:47]                   // 0000000063AC: D1000004 00BA2510
	v_cmp_u_f32_e64 s[46:47], v79, v79                         // 0000000063B4: D048002E 00029F4F
	v_add3_u32 v16, v79, v19, 1                                // 0000000063BC: D1FF0010 0206274F
	v_cndmask_b32_e64 v5, v16, v18, s[46:47]                   // 0000000063C4: D1000005 00BA2510
	v_perm_b32 v71, v5, v4, s52                                // 0000000063CC: D1ED0047 00D20905
	v_cmp_u_f32_e64 s[46:47], v80, v80                         // 0000000063D4: D048002E 0002A150
	v_add3_u32 v16, v80, v19, 1                                // 0000000063DC: D1FF0010 02062750
	v_cndmask_b32_e64 v4, v16, v18, s[46:47]                   // 0000000063E4: D1000004 00BA2510
	v_cmp_u_f32_e64 s[46:47], v81, v81                         // 0000000063EC: D048002E 0002A351
	v_add3_u32 v16, v81, v19, 1                                // 0000000063F4: D1FF0010 02062751
	v_cndmask_b32_e64 v5, v16, v18, s[46:47]                   // 0000000063FC: D1000005 00BA2510
	v_perm_b32 v72, v5, v4, s52                                // 000000006404: D1ED0048 00D20905
	v_cmp_u_f32_e64 s[46:47], v82, v82                         // 00000000640C: D048002E 0002A552
	v_add3_u32 v16, v82, v19, 1                                // 000000006414: D1FF0010 02062752
	v_cndmask_b32_e64 v4, v16, v18, s[46:47]                   // 00000000641C: D1000004 00BA2510
	v_cmp_u_f32_e64 s[46:47], v83, v83                         // 000000006424: D048002E 0002A753
	v_add3_u32 v16, v83, v19, 1                                // 00000000642C: D1FF0010 02062753
	v_cndmask_b32_e64 v5, v16, v18, s[46:47]                   // 000000006434: D1000005 00BA2510
	v_perm_b32 v73, v5, v4, s52                                // 00000000643C: D1ED0049 00D20905
	v_cmp_u_f32_e64 s[46:47], v84, v84                         // 000000006444: D048002E 0002A954
	v_add3_u32 v16, v84, v19, 1                                // 00000000644C: D1FF0010 02062754
	v_cndmask_b32_e64 v4, v16, v18, s[46:47]                   // 000000006454: D1000004 00BA2510
	v_cmp_u_f32_e64 s[46:47], v85, v85                         // 00000000645C: D048002E 0002AB55
	v_add3_u32 v16, v85, v19, 1                                // 000000006464: D1FF0010 02062755
	v_cndmask_b32_e64 v5, v16, v18, s[46:47]                   // 00000000646C: D1000005 00BA2510
	v_perm_b32 v74, v5, v4, s52                                // 000000006474: D1ED004A 00D20905
	v_cmp_u_f32_e64 s[46:47], v86, v86                         // 00000000647C: D048002E 0002AD56
	v_add3_u32 v16, v86, v19, 1                                // 000000006484: D1FF0010 02062756
	v_cndmask_b32_e64 v4, v16, v18, s[46:47]                   // 00000000648C: D1000004 00BA2510
	v_cmp_u_f32_e64 s[46:47], v87, v87                         // 000000006494: D048002E 0002AF57
	v_add3_u32 v16, v87, v19, 1                                // 00000000649C: D1FF0010 02062757
	v_cndmask_b32_e64 v5, v16, v18, s[46:47]                   // 0000000064A4: D1000005 00BA2510
	v_perm_b32 v75, v5, v4, s52                                // 0000000064AC: D1ED004B 00D20905
	v_cmp_u_f32_e64 s[46:47], v88, v88                         // 0000000064B4: D048002E 0002B158
	v_add3_u32 v16, v88, v19, 1                                // 0000000064BC: D1FF0010 02062758
	v_cndmask_b32_e64 v4, v16, v18, s[46:47]                   // 0000000064C4: D1000004 00BA2510
	v_cmp_u_f32_e64 s[46:47], v89, v89                         // 0000000064CC: D048002E 0002B359
	v_add3_u32 v16, v89, v19, 1                                // 0000000064D4: D1FF0010 02062759
	v_cndmask_b32_e64 v5, v16, v18, s[46:47]                   // 0000000064DC: D1000005 00BA2510
	v_perm_b32 v76, v5, v4, s52                                // 0000000064E4: D1ED004C 00D20905
	v_cmp_u_f32_e64 s[46:47], v90, v90                         // 0000000064EC: D048002E 0002B55A
	v_add3_u32 v16, v90, v19, 1                                // 0000000064F4: D1FF0010 0206275A
	v_cndmask_b32_e64 v4, v16, v18, s[46:47]                   // 0000000064FC: D1000004 00BA2510
	v_cmp_u_f32_e64 s[46:47], v91, v91                         // 000000006504: D048002E 0002B75B
	v_add3_u32 v16, v91, v19, 1                                // 00000000650C: D1FF0010 0206275B
	v_cndmask_b32_e64 v5, v16, v18, s[46:47]                   // 000000006514: D1000005 00BA2510
	v_perm_b32 v77, v5, v4, s52                                // 00000000651C: D1ED004D 00D20905
	v_cmp_u_f32_e64 s[46:47], v92, v92                         // 000000006524: D048002E 0002B95C
	v_add3_u32 v16, v92, v19, 1                                // 00000000652C: D1FF0010 0206275C
	v_cndmask_b32_e64 v4, v16, v18, s[46:47]                   // 000000006534: D1000004 00BA2510
	v_cmp_u_f32_e64 s[46:47], v93, v93                         // 00000000653C: D048002E 0002BB5D
	v_add3_u32 v16, v93, v19, 1                                // 000000006544: D1FF0010 0206275D
	v_cndmask_b32_e64 v5, v16, v18, s[46:47]                   // 00000000654C: D1000005 00BA2510
	v_perm_b32 v78, v5, v4, s52                                // 000000006554: D1ED004E 00D20905
	v_cmp_u_f32_e64 s[46:47], v94, v94                         // 00000000655C: D048002E 0002BD5E
	v_add3_u32 v16, v94, v19, 1                                // 000000006564: D1FF0010 0206275E
	v_cndmask_b32_e64 v4, v16, v18, s[46:47]                   // 00000000656C: D1000004 00BA2510
	v_cmp_u_f32_e64 s[46:47], v95, v95                         // 000000006574: D048002E 0002BF5F
	v_add3_u32 v16, v95, v19, 1                                // 00000000657C: D1FF0010 0206275F
	v_cndmask_b32_e64 v5, v16, v18, s[46:47]                   // 000000006584: D1000005 00BA2510
	v_perm_b32 v79, v5, v4, s52                                // 00000000658C: D1ED004F 00D20905
	v_cmp_u_f32_e64 s[46:47], v96, v96                         // 000000006594: D048002E 0002C160
	v_add3_u32 v16, v96, v19, 1                                // 00000000659C: D1FF0010 02062760
	v_cndmask_b32_e64 v4, v16, v18, s[46:47]                   // 0000000065A4: D1000004 00BA2510
	v_cmp_u_f32_e64 s[46:47], v97, v97                         // 0000000065AC: D048002E 0002C361
	v_add3_u32 v16, v97, v19, 1                                // 0000000065B4: D1FF0010 02062761
	v_cndmask_b32_e64 v5, v16, v18, s[46:47]                   // 0000000065BC: D1000005 00BA2510
	v_perm_b32 v80, v5, v4, s52                                // 0000000065C4: D1ED0050 00D20905
	v_cmp_u_f32_e64 s[46:47], v98, v98                         // 0000000065CC: D048002E 0002C562
	v_add3_u32 v16, v98, v19, 1                                // 0000000065D4: D1FF0010 02062762
	v_cndmask_b32_e64 v4, v16, v18, s[46:47]                   // 0000000065DC: D1000004 00BA2510
	v_cmp_u_f32_e64 s[46:47], v99, v99                         // 0000000065E4: D048002E 0002C763
	v_add3_u32 v16, v99, v19, 1                                // 0000000065EC: D1FF0010 02062763
	v_cndmask_b32_e64 v5, v16, v18, s[46:47]                   // 0000000065F4: D1000005 00BA2510
	v_perm_b32 v81, v5, v4, s52                                // 0000000065FC: D1ED0051 00D20905
	v_cmp_u_f32_e64 s[46:47], v100, v100                       // 000000006604: D048002E 0002C964
	v_add3_u32 v16, v100, v19, 1                               // 00000000660C: D1FF0010 02062764
	v_cndmask_b32_e64 v4, v16, v18, s[46:47]                   // 000000006614: D1000004 00BA2510
	v_cmp_u_f32_e64 s[46:47], v101, v101                       // 00000000661C: D048002E 0002CB65
	v_add3_u32 v16, v101, v19, 1                               // 000000006624: D1FF0010 02062765
	v_cndmask_b32_e64 v5, v16, v18, s[46:47]                   // 00000000662C: D1000005 00BA2510
	v_perm_b32 v82, v5, v4, s52                                // 000000006634: D1ED0052 00D20905
	v_cmp_u_f32_e64 s[46:47], v102, v102                       // 00000000663C: D048002E 0002CD66
	v_add3_u32 v16, v102, v19, 1                               // 000000006644: D1FF0010 02062766
	v_cndmask_b32_e64 v4, v16, v18, s[46:47]                   // 00000000664C: D1000004 00BA2510
	v_cmp_u_f32_e64 s[46:47], v103, v103                       // 000000006654: D048002E 0002CF67
	v_add3_u32 v16, v103, v19, 1                               // 00000000665C: D1FF0010 02062767
	v_cndmask_b32_e64 v5, v16, v18, s[46:47]                   // 000000006664: D1000005 00BA2510
	v_perm_b32 v83, v5, v4, s52                                // 00000000666C: D1ED0053 00D20905
	v_cmp_u_f32_e64 s[46:47], v104, v104                       // 000000006674: D048002E 0002D168
	v_add3_u32 v16, v104, v19, 1                               // 00000000667C: D1FF0010 02062768
	v_cndmask_b32_e64 v4, v16, v18, s[46:47]                   // 000000006684: D1000004 00BA2510
	v_cmp_u_f32_e64 s[46:47], v105, v105                       // 00000000668C: D048002E 0002D369
	v_add3_u32 v16, v105, v19, 1                               // 000000006694: D1FF0010 02062769
	v_cndmask_b32_e64 v5, v16, v18, s[46:47]                   // 00000000669C: D1000005 00BA2510
	v_perm_b32 v84, v5, v4, s52                                // 0000000066A4: D1ED0054 00D20905
	v_cmp_u_f32_e64 s[46:47], v106, v106                       // 0000000066AC: D048002E 0002D56A
	v_add3_u32 v16, v106, v19, 1                               // 0000000066B4: D1FF0010 0206276A
	v_cndmask_b32_e64 v4, v16, v18, s[46:47]                   // 0000000066BC: D1000004 00BA2510
	v_cmp_u_f32_e64 s[46:47], v107, v107                       // 0000000066C4: D048002E 0002D76B
	v_add3_u32 v16, v107, v19, 1                               // 0000000066CC: D1FF0010 0206276B
	v_cndmask_b32_e64 v5, v16, v18, s[46:47]                   // 0000000066D4: D1000005 00BA2510
	v_perm_b32 v85, v5, v4, s52                                // 0000000066DC: D1ED0055 00D20905
	v_cmp_u_f32_e64 s[46:47], v108, v108                       // 0000000066E4: D048002E 0002D96C
	v_add3_u32 v16, v108, v19, 1                               // 0000000066EC: D1FF0010 0206276C
	v_cndmask_b32_e64 v4, v16, v18, s[46:47]                   // 0000000066F4: D1000004 00BA2510
	v_cmp_u_f32_e64 s[46:47], v109, v109                       // 0000000066FC: D048002E 0002DB6D
	v_add3_u32 v16, v109, v19, 1                               // 000000006704: D1FF0010 0206276D
	v_cndmask_b32_e64 v5, v16, v18, s[46:47]                   // 00000000670C: D1000005 00BA2510
	v_perm_b32 v86, v5, v4, s52                                // 000000006714: D1ED0056 00D20905
	v_cmp_u_f32_e64 s[46:47], v110, v110                       // 00000000671C: D048002E 0002DD6E
	v_add3_u32 v16, v110, v19, 1                               // 000000006724: D1FF0010 0206276E
	v_cndmask_b32_e64 v4, v16, v18, s[46:47]                   // 00000000672C: D1000004 00BA2510
	v_cmp_u_f32_e64 s[46:47], v111, v111                       // 000000006734: D048002E 0002DF6F
	v_add3_u32 v16, v111, v19, 1                               // 00000000673C: D1FF0010 0206276F
	v_cndmask_b32_e64 v5, v16, v18, s[46:47]                   // 000000006744: D1000005 00BA2510
	v_perm_b32 v87, v5, v4, s52                                // 00000000674C: D1ED0057 00D20905
	v_cmp_u_f32_e64 s[46:47], v112, v112                       // 000000006754: D048002E 0002E170
	v_add3_u32 v16, v112, v19, 1                               // 00000000675C: D1FF0010 02062770
	v_cndmask_b32_e64 v4, v16, v18, s[46:47]                   // 000000006764: D1000004 00BA2510
	v_cmp_u_f32_e64 s[46:47], v113, v113                       // 00000000676C: D048002E 0002E371
	v_add3_u32 v16, v113, v19, 1                               // 000000006774: D1FF0010 02062771
	v_cndmask_b32_e64 v5, v16, v18, s[46:47]                   // 00000000677C: D1000005 00BA2510
	v_perm_b32 v88, v5, v4, s52                                // 000000006784: D1ED0058 00D20905
	v_cmp_u_f32_e64 s[46:47], v114, v114                       // 00000000678C: D048002E 0002E572
	v_add3_u32 v16, v114, v19, 1                               // 000000006794: D1FF0010 02062772
	v_cndmask_b32_e64 v4, v16, v18, s[46:47]                   // 00000000679C: D1000004 00BA2510
	v_cmp_u_f32_e64 s[46:47], v115, v115                       // 0000000067A4: D048002E 0002E773
	v_add3_u32 v16, v115, v19, 1                               // 0000000067AC: D1FF0010 02062773
	v_cndmask_b32_e64 v5, v16, v18, s[46:47]                   // 0000000067B4: D1000005 00BA2510
	v_perm_b32 v89, v5, v4, s52                                // 0000000067BC: D1ED0059 00D20905
	v_cmp_u_f32_e64 s[46:47], v116, v116                       // 0000000067C4: D048002E 0002E974
	v_add3_u32 v16, v116, v19, 1                               // 0000000067CC: D1FF0010 02062774
	v_cndmask_b32_e64 v4, v16, v18, s[46:47]                   // 0000000067D4: D1000004 00BA2510
	v_cmp_u_f32_e64 s[46:47], v117, v117                       // 0000000067DC: D048002E 0002EB75
	v_add3_u32 v16, v117, v19, 1                               // 0000000067E4: D1FF0010 02062775
	v_cndmask_b32_e64 v5, v16, v18, s[46:47]                   // 0000000067EC: D1000005 00BA2510
	v_perm_b32 v90, v5, v4, s52                                // 0000000067F4: D1ED005A 00D20905
	v_cmp_u_f32_e64 s[46:47], v118, v118                       // 0000000067FC: D048002E 0002ED76
	v_add3_u32 v16, v118, v19, 1                               // 000000006804: D1FF0010 02062776
	v_cndmask_b32_e64 v4, v16, v18, s[46:47]                   // 00000000680C: D1000004 00BA2510
	v_cmp_u_f32_e64 s[46:47], v119, v119                       // 000000006814: D048002E 0002EF77
	v_add3_u32 v16, v119, v19, 1                               // 00000000681C: D1FF0010 02062777
	v_cndmask_b32_e64 v5, v16, v18, s[46:47]                   // 000000006824: D1000005 00BA2510
	v_perm_b32 v91, v5, v4, s52                                // 00000000682C: D1ED005B 00D20905
	v_cmp_u_f32_e64 s[46:47], v120, v120                       // 000000006834: D048002E 0002F178
	v_add3_u32 v16, v120, v19, 1                               // 00000000683C: D1FF0010 02062778
	v_cndmask_b32_e64 v4, v16, v18, s[46:47]                   // 000000006844: D1000004 00BA2510
	v_cmp_u_f32_e64 s[46:47], v121, v121                       // 00000000684C: D048002E 0002F379
	v_add3_u32 v16, v121, v19, 1                               // 000000006854: D1FF0010 02062779
	v_cndmask_b32_e64 v5, v16, v18, s[46:47]                   // 00000000685C: D1000005 00BA2510
	v_perm_b32 v92, v5, v4, s52                                // 000000006864: D1ED005C 00D20905
	v_cmp_u_f32_e64 s[46:47], v122, v122                       // 00000000686C: D048002E 0002F57A
	v_add3_u32 v16, v122, v19, 1                               // 000000006874: D1FF0010 0206277A
	v_cndmask_b32_e64 v4, v16, v18, s[46:47]                   // 00000000687C: D1000004 00BA2510
	v_cmp_u_f32_e64 s[46:47], v123, v123                       // 000000006884: D048002E 0002F77B
	v_add3_u32 v16, v123, v19, 1                               // 00000000688C: D1FF0010 0206277B
	v_cndmask_b32_e64 v5, v16, v18, s[46:47]                   // 000000006894: D1000005 00BA2510
	v_perm_b32 v93, v5, v4, s52                                // 00000000689C: D1ED005D 00D20905
	v_cmp_u_f32_e64 s[46:47], v124, v124                       // 0000000068A4: D048002E 0002F97C
	v_add3_u32 v16, v124, v19, 1                               // 0000000068AC: D1FF0010 0206277C
	v_cndmask_b32_e64 v4, v16, v18, s[46:47]                   // 0000000068B4: D1000004 00BA2510
	v_cmp_u_f32_e64 s[46:47], v125, v125                       // 0000000068BC: D048002E 0002FB7D
	v_add3_u32 v16, v125, v19, 1                               // 0000000068C4: D1FF0010 0206277D
	v_cndmask_b32_e64 v5, v16, v18, s[46:47]                   // 0000000068CC: D1000005 00BA2510
	v_perm_b32 v94, v5, v4, s52                                // 0000000068D4: D1ED005E 00D20905
	v_cmp_u_f32_e64 s[46:47], v126, v126                       // 0000000068DC: D048002E 0002FD7E
	v_add3_u32 v16, v126, v19, 1                               // 0000000068E4: D1FF0010 0206277E
	v_cndmask_b32_e64 v4, v16, v18, s[46:47]                   // 0000000068EC: D1000004 00BA2510
	v_cmp_u_f32_e64 s[46:47], v127, v127                       // 0000000068F4: D048002E 0002FF7F
	v_add3_u32 v16, v127, v19, 1                               // 0000000068FC: D1FF0010 0206277F
	v_cndmask_b32_e64 v5, v16, v18, s[46:47]                   // 000000006904: D1000005 00BA2510
	v_perm_b32 v95, v5, v4, s52                                // 00000000690C: D1ED005F 00D20905
	v_cmp_u_f32_e64 s[46:47], v128, v128                       // 000000006914: D048002E 00030180
	v_add3_u32 v16, v128, v19, 1                               // 00000000691C: D1FF0010 02062780
	v_cndmask_b32_e64 v4, v16, v18, s[46:47]                   // 000000006924: D1000004 00BA2510
	v_cmp_u_f32_e64 s[46:47], v129, v129                       // 00000000692C: D048002E 00030381
	v_add3_u32 v16, v129, v19, 1                               // 000000006934: D1FF0010 02062781
	v_cndmask_b32_e64 v5, v16, v18, s[46:47]                   // 00000000693C: D1000005 00BA2510
	v_perm_b32 v96, v5, v4, s52                                // 000000006944: D1ED0060 00D20905
	v_cmp_u_f32_e64 s[46:47], v130, v130                       // 00000000694C: D048002E 00030582
	v_add3_u32 v16, v130, v19, 1                               // 000000006954: D1FF0010 02062782
	v_cndmask_b32_e64 v4, v16, v18, s[46:47]                   // 00000000695C: D1000004 00BA2510
	v_cmp_u_f32_e64 s[46:47], v131, v131                       // 000000006964: D048002E 00030783
	v_add3_u32 v16, v131, v19, 1                               // 00000000696C: D1FF0010 02062783
	v_cndmask_b32_e64 v5, v16, v18, s[46:47]                   // 000000006974: D1000005 00BA2510
	v_perm_b32 v97, v5, v4, s52                                // 00000000697C: D1ED0061 00D20905
	v_cmp_u_f32_e64 s[46:47], v132, v132                       // 000000006984: D048002E 00030984
	v_add3_u32 v16, v132, v19, 1                               // 00000000698C: D1FF0010 02062784
	v_cndmask_b32_e64 v4, v16, v18, s[46:47]                   // 000000006994: D1000004 00BA2510
	v_cmp_u_f32_e64 s[46:47], v133, v133                       // 00000000699C: D048002E 00030B85
	v_add3_u32 v16, v133, v19, 1                               // 0000000069A4: D1FF0010 02062785
	v_cndmask_b32_e64 v5, v16, v18, s[46:47]                   // 0000000069AC: D1000005 00BA2510
	v_perm_b32 v98, v5, v4, s52                                // 0000000069B4: D1ED0062 00D20905
	v_cmp_u_f32_e64 s[46:47], v134, v134                       // 0000000069BC: D048002E 00030D86
	v_add3_u32 v16, v134, v19, 1                               // 0000000069C4: D1FF0010 02062786
	v_cndmask_b32_e64 v4, v16, v18, s[46:47]                   // 0000000069CC: D1000004 00BA2510
	v_cmp_u_f32_e64 s[46:47], v135, v135                       // 0000000069D4: D048002E 00030F87
	v_add3_u32 v16, v135, v19, 1                               // 0000000069DC: D1FF0010 02062787
	v_cndmask_b32_e64 v5, v16, v18, s[46:47]                   // 0000000069E4: D1000005 00BA2510
	v_perm_b32 v99, v5, v4, s52                                // 0000000069EC: D1ED0063 00D20905
	v_cmp_u_f32_e64 s[46:47], v136, v136                       // 0000000069F4: D048002E 00031188
	v_add3_u32 v16, v136, v19, 1                               // 0000000069FC: D1FF0010 02062788
	v_cndmask_b32_e64 v4, v16, v18, s[46:47]                   // 000000006A04: D1000004 00BA2510
	v_cmp_u_f32_e64 s[46:47], v137, v137                       // 000000006A0C: D048002E 00031389
	v_add3_u32 v16, v137, v19, 1                               // 000000006A14: D1FF0010 02062789
	v_cndmask_b32_e64 v5, v16, v18, s[46:47]                   // 000000006A1C: D1000005 00BA2510
	v_perm_b32 v100, v5, v4, s52                               // 000000006A24: D1ED0064 00D20905
	v_cmp_u_f32_e64 s[46:47], v138, v138                       // 000000006A2C: D048002E 0003158A
	v_add3_u32 v16, v138, v19, 1                               // 000000006A34: D1FF0010 0206278A
	v_cndmask_b32_e64 v4, v16, v18, s[46:47]                   // 000000006A3C: D1000004 00BA2510
	v_cmp_u_f32_e64 s[46:47], v139, v139                       // 000000006A44: D048002E 0003178B
	v_add3_u32 v16, v139, v19, 1                               // 000000006A4C: D1FF0010 0206278B
	v_cndmask_b32_e64 v5, v16, v18, s[46:47]                   // 000000006A54: D1000005 00BA2510
	v_perm_b32 v101, v5, v4, s52                               // 000000006A5C: D1ED0065 00D20905
	v_cmp_u_f32_e64 s[46:47], v140, v140                       // 000000006A64: D048002E 0003198C
	v_add3_u32 v16, v140, v19, 1                               // 000000006A6C: D1FF0010 0206278C
	v_cndmask_b32_e64 v4, v16, v18, s[46:47]                   // 000000006A74: D1000004 00BA2510
	v_cmp_u_f32_e64 s[46:47], v141, v141                       // 000000006A7C: D048002E 00031B8D
	v_add3_u32 v16, v141, v19, 1                               // 000000006A84: D1FF0010 0206278D
	v_cndmask_b32_e64 v5, v16, v18, s[46:47]                   // 000000006A8C: D1000005 00BA2510
	v_perm_b32 v102, v5, v4, s52                               // 000000006A94: D1ED0066 00D20905
	v_cmp_u_f32_e64 s[46:47], v142, v142                       // 000000006A9C: D048002E 00031D8E
	v_add3_u32 v16, v142, v19, 1                               // 000000006AA4: D1FF0010 0206278E
	v_cndmask_b32_e64 v4, v16, v18, s[46:47]                   // 000000006AAC: D1000004 00BA2510
	v_cmp_u_f32_e64 s[46:47], v143, v143                       // 000000006AB4: D048002E 00031F8F
	v_add3_u32 v16, v143, v19, 1                               // 000000006ABC: D1FF0010 0206278F
	v_cndmask_b32_e64 v5, v16, v18, s[46:47]                   // 000000006AC4: D1000005 00BA2510
	v_perm_b32 v103, v5, v4, s52                               // 000000006ACC: D1ED0067 00D20905
	ds_write_b64 v20, v[64:65]                                 // 000000006AD4: D89A0000 00004014
	ds_write_b64 v20, v[66:67] offset:8704                     // 000000006ADC: D89A2200 00004214
	ds_write_b64 v20, v[68:69] offset:17408                    // 000000006AE4: D89A4400 00004414
	ds_write_b64 v20, v[70:71] offset:26112                    // 000000006AEC: D89A6600 00004614
	ds_write_b64 v20, v[72:73] offset:34816                    // 000000006AF4: D89A8800 00004814
	ds_write_b64 v20, v[74:75] offset:2176                     // 000000006AFC: D89A0880 00004A14
	ds_write_b64 v20, v[76:77] offset:10880                    // 000000006B04: D89A2A80 00004C14
	ds_write_b64 v20, v[78:79] offset:19584                    // 000000006B0C: D89A4C80 00004E14
	ds_write_b64 v20, v[80:81] offset:28288                    // 000000006B14: D89A6E80 00005014
	ds_write_b64 v20, v[82:83] offset:36992                    // 000000006B1C: D89A9080 00005214
	ds_write_b64 v20, v[84:85] offset:4352                     // 000000006B24: D89A1100 00005414
	ds_write_b64 v20, v[86:87] offset:13056                    // 000000006B2C: D89A3300 00005614
	ds_write_b64 v20, v[88:89] offset:21760                    // 000000006B34: D89A5500 00005814
	ds_write_b64 v20, v[90:91] offset:30464                    // 000000006B3C: D89A7700 00005A14
	ds_write_b64 v20, v[92:93] offset:39168                    // 000000006B44: D89A9900 00005C14
	ds_write_b64 v20, v[94:95] offset:6528                     // 000000006B4C: D89A1980 00005E14
	ds_write_b64 v20, v[96:97] offset:15232                    // 000000006B54: D89A3B80 00006014
	ds_write_b64 v20, v[98:99] offset:23936                    // 000000006B5C: D89A5D80 00006214
	ds_write_b64 v20, v[100:101] offset:32640                  // 000000006B64: D89A7F80 00006414
	ds_write_b64 v20, v[102:103] offset:41344                  // 000000006B6C: D89AA180 00006614
	v_lshrrev_b32_e32 v4, 5, v0                                // 000000006B74: 20080085
	v_xor_b32_e32 v5, 1, v4                                    // 000000006B78: 2A0A0881
	s_mul_i32 s60, s65, 2                                      // 000000006B7C: 923C8241
	s_cmp_eq_u32 s88, 0                                        // 000000006B80: BF068058
	s_cselect_b32 s61, 1, 4                                    // 000000006B84: 853D8481
	s_mul_i32 s60, s61, s60                                    // 000000006B88: 923C3C3D
	v_readlane_b32 s82, v3, 0                                  // 000000006B8C: D2890052 00010103
	s_lshr_b32 s61, s82, 24                                    // 000000006B94: 8F3D9852
	s_and_b32 s82, s82, 0xffffff                               // 000000006B98: 8652FF52 00FFFFFF
	s_mul_i32 s82, s82, s71                                    // 000000006BA0: 92524752
	s_mul_i32 s61, s60, s61                                    // 000000006BA4: 923D3D3C
	s_add_u32 s82, s82, s61                                    // 000000006BA8: 80523D52
	v_mul_lo_u32 v6, v5, s82                                   // 000000006BAC: D2850006 0000A505
	v_readlane_b32 s82, v3, 1                                  // 000000006BB4: D2890052 00010303
	s_lshr_b32 s61, s82, 24                                    // 000000006BBC: 8F3D9852
	s_and_b32 s82, s82, 0xffffff                               // 000000006BC0: 8652FF52 00FFFFFF
	s_mul_i32 s82, s82, s71                                    // 000000006BC8: 92524752
	s_mul_i32 s61, s60, s61                                    // 000000006BCC: 923D3D3C
	s_add_u32 s82, s82, s61                                    // 000000006BD0: 80523D52
	v_mul_lo_u32 v7, v4, s82                                   // 000000006BD4: D2850007 0000A504
	v_add_u32_e32 v48, v6, v7                                  // 000000006BDC: 68600F06
	v_readlane_b32 s82, v3, 2                                  // 000000006BE0: D2890052 00010503
	s_lshr_b32 s61, s82, 24                                    // 000000006BE8: 8F3D9852
	s_and_b32 s82, s82, 0xffffff                               // 000000006BEC: 8652FF52 00FFFFFF
	s_mul_i32 s82, s82, s71                                    // 000000006BF4: 92524752
	s_mul_i32 s61, s60, s61                                    // 000000006BF8: 923D3D3C
	s_add_u32 s82, s82, s61                                    // 000000006BFC: 80523D52
	v_mul_lo_u32 v6, v5, s82                                   // 000000006C00: D2850006 0000A505
	v_readlane_b32 s82, v3, 3                                  // 000000006C08: D2890052 00010703
	s_lshr_b32 s61, s82, 24                                    // 000000006C10: 8F3D9852
	s_and_b32 s82, s82, 0xffffff                               // 000000006C14: 8652FF52 00FFFFFF
	s_mul_i32 s82, s82, s71                                    // 000000006C1C: 92524752
	s_mul_i32 s61, s60, s61                                    // 000000006C20: 923D3D3C
	s_add_u32 s82, s82, s61                                    // 000000006C24: 80523D52
	v_mul_lo_u32 v7, v4, s82                                   // 000000006C28: D2850007 0000A504
	v_add_u32_e32 v49, v6, v7                                  // 000000006C30: 68620F06
	v_readlane_b32 s82, v3, 4                                  // 000000006C34: D2890052 00010903
	s_lshr_b32 s61, s82, 24                                    // 000000006C3C: 8F3D9852
	s_and_b32 s82, s82, 0xffffff                               // 000000006C40: 8652FF52 00FFFFFF
	s_mul_i32 s82, s82, s71                                    // 000000006C48: 92524752
	s_mul_i32 s61, s60, s61                                    // 000000006C4C: 923D3D3C
	s_add_u32 s82, s82, s61                                    // 000000006C50: 80523D52
	v_mul_lo_u32 v6, v5, s82                                   // 000000006C54: D2850006 0000A505
	v_readlane_b32 s82, v3, 5                                  // 000000006C5C: D2890052 00010B03
	s_lshr_b32 s61, s82, 24                                    // 000000006C64: 8F3D9852
	s_and_b32 s82, s82, 0xffffff                               // 000000006C68: 8652FF52 00FFFFFF
	s_mul_i32 s82, s82, s71                                    // 000000006C70: 92524752
	s_mul_i32 s61, s60, s61                                    // 000000006C74: 923D3D3C
	s_add_u32 s82, s82, s61                                    // 000000006C78: 80523D52
	v_mul_lo_u32 v7, v4, s82                                   // 000000006C7C: D2850007 0000A504
	v_add_u32_e32 v50, v6, v7                                  // 000000006C84: 68640F06
	v_readlane_b32 s82, v3, 6                                  // 000000006C88: D2890052 00010D03
	s_lshr_b32 s61, s82, 24                                    // 000000006C90: 8F3D9852
	s_and_b32 s82, s82, 0xffffff                               // 000000006C94: 8652FF52 00FFFFFF
	s_mul_i32 s82, s82, s71                                    // 000000006C9C: 92524752
	s_mul_i32 s61, s60, s61                                    // 000000006CA0: 923D3D3C
	s_add_u32 s82, s82, s61                                    // 000000006CA4: 80523D52
	v_mul_lo_u32 v6, v5, s82                                   // 000000006CA8: D2850006 0000A505
	v_readlane_b32 s82, v3, 7                                  // 000000006CB0: D2890052 00010F03
	s_lshr_b32 s61, s82, 24                                    // 000000006CB8: 8F3D9852
	s_and_b32 s82, s82, 0xffffff                               // 000000006CBC: 8652FF52 00FFFFFF
	s_mul_i32 s82, s82, s71                                    // 000000006CC4: 92524752
	s_mul_i32 s61, s60, s61                                    // 000000006CC8: 923D3D3C
	s_add_u32 s82, s82, s61                                    // 000000006CCC: 80523D52
	v_mul_lo_u32 v7, v4, s82                                   // 000000006CD0: D2850007 0000A504
	v_add_u32_e32 v51, v6, v7                                  // 000000006CD8: 68660F06
	v_readlane_b32 s82, v3, 8                                  // 000000006CDC: D2890052 00011103
	s_lshr_b32 s61, s82, 24                                    // 000000006CE4: 8F3D9852
	s_and_b32 s82, s82, 0xffffff                               // 000000006CE8: 8652FF52 00FFFFFF
	s_mul_i32 s82, s82, s71                                    // 000000006CF0: 92524752
	s_mul_i32 s61, s60, s61                                    // 000000006CF4: 923D3D3C
	s_add_u32 s82, s82, s61                                    // 000000006CF8: 80523D52
	v_mul_lo_u32 v6, v5, s82                                   // 000000006CFC: D2850006 0000A505
	v_readlane_b32 s82, v3, 9                                  // 000000006D04: D2890052 00011303
	s_lshr_b32 s61, s82, 24                                    // 000000006D0C: 8F3D9852
	s_and_b32 s82, s82, 0xffffff                               // 000000006D10: 8652FF52 00FFFFFF
	s_mul_i32 s82, s82, s71                                    // 000000006D18: 92524752
	s_mul_i32 s61, s60, s61                                    // 000000006D1C: 923D3D3C
	s_add_u32 s82, s82, s61                                    // 000000006D20: 80523D52
	v_mul_lo_u32 v7, v4, s82                                   // 000000006D24: D2850007 0000A504
	v_add_u32_e32 v52, v6, v7                                  // 000000006D2C: 68680F06
	v_readlane_b32 s82, v3, 10                                 // 000000006D30: D2890052 00011503
	s_lshr_b32 s61, s82, 24                                    // 000000006D38: 8F3D9852
	s_and_b32 s82, s82, 0xffffff                               // 000000006D3C: 8652FF52 00FFFFFF
	s_mul_i32 s82, s82, s71                                    // 000000006D44: 92524752
	s_mul_i32 s61, s60, s61                                    // 000000006D48: 923D3D3C
	s_add_u32 s82, s82, s61                                    // 000000006D4C: 80523D52
	v_mul_lo_u32 v6, v5, s82                                   // 000000006D50: D2850006 0000A505
	v_readlane_b32 s82, v3, 11                                 // 000000006D58: D2890052 00011703
	s_lshr_b32 s61, s82, 24                                    // 000000006D60: 8F3D9852
	s_and_b32 s82, s82, 0xffffff                               // 000000006D64: 8652FF52 00FFFFFF
	s_mul_i32 s82, s82, s71                                    // 000000006D6C: 92524752
	s_mul_i32 s61, s60, s61                                    // 000000006D70: 923D3D3C
	s_add_u32 s82, s82, s61                                    // 000000006D74: 80523D52
	v_mul_lo_u32 v7, v4, s82                                   // 000000006D78: D2850007 0000A504
	v_add_u32_e32 v53, v6, v7                                  // 000000006D80: 686A0F06
	v_readlane_b32 s82, v3, 12                                 // 000000006D84: D2890052 00011903
	s_lshr_b32 s61, s82, 24                                    // 000000006D8C: 8F3D9852
	s_and_b32 s82, s82, 0xffffff                               // 000000006D90: 8652FF52 00FFFFFF
	s_mul_i32 s82, s82, s71                                    // 000000006D98: 92524752
	s_mul_i32 s61, s60, s61                                    // 000000006D9C: 923D3D3C
	s_add_u32 s82, s82, s61                                    // 000000006DA0: 80523D52
	v_mul_lo_u32 v6, v5, s82                                   // 000000006DA4: D2850006 0000A505
	v_readlane_b32 s82, v3, 13                                 // 000000006DAC: D2890052 00011B03
	s_lshr_b32 s61, s82, 24                                    // 000000006DB4: 8F3D9852
	s_and_b32 s82, s82, 0xffffff                               // 000000006DB8: 8652FF52 00FFFFFF
	s_mul_i32 s82, s82, s71                                    // 000000006DC0: 92524752
	s_mul_i32 s61, s60, s61                                    // 000000006DC4: 923D3D3C
	s_add_u32 s82, s82, s61                                    // 000000006DC8: 80523D52
	v_mul_lo_u32 v7, v4, s82                                   // 000000006DCC: D2850007 0000A504
	v_add_u32_e32 v54, v6, v7                                  // 000000006DD4: 686C0F06
	v_readlane_b32 s82, v3, 14                                 // 000000006DD8: D2890052 00011D03
	s_lshr_b32 s61, s82, 24                                    // 000000006DE0: 8F3D9852
	s_and_b32 s82, s82, 0xffffff                               // 000000006DE4: 8652FF52 00FFFFFF
	s_mul_i32 s82, s82, s71                                    // 000000006DEC: 92524752
	s_mul_i32 s61, s60, s61                                    // 000000006DF0: 923D3D3C
	s_add_u32 s82, s82, s61                                    // 000000006DF4: 80523D52
	v_mul_lo_u32 v6, v5, s82                                   // 000000006DF8: D2850006 0000A505
	v_readlane_b32 s82, v3, 15                                 // 000000006E00: D2890052 00011F03
	s_lshr_b32 s61, s82, 24                                    // 000000006E08: 8F3D9852
	s_and_b32 s82, s82, 0xffffff                               // 000000006E0C: 8652FF52 00FFFFFF
	s_mul_i32 s82, s82, s71                                    // 000000006E14: 92524752
	s_mul_i32 s61, s60, s61                                    // 000000006E18: 923D3D3C
	s_add_u32 s82, s82, s61                                    // 000000006E1C: 80523D52
	v_mul_lo_u32 v7, v4, s82                                   // 000000006E20: D2850007 0000A504
	v_add_u32_e32 v55, v6, v7                                  // 000000006E28: 686E0F06
	v_readlane_b32 s82, v3, 16                                 // 000000006E2C: D2890052 00012103
	s_lshr_b32 s61, s82, 24                                    // 000000006E34: 8F3D9852
	s_and_b32 s82, s82, 0xffffff                               // 000000006E38: 8652FF52 00FFFFFF
	s_mul_i32 s82, s82, s71                                    // 000000006E40: 92524752
	s_mul_i32 s61, s60, s61                                    // 000000006E44: 923D3D3C
	s_add_u32 s82, s82, s61                                    // 000000006E48: 80523D52
	v_mul_lo_u32 v6, v5, s82                                   // 000000006E4C: D2850006 0000A505
	v_readlane_b32 s82, v3, 17                                 // 000000006E54: D2890052 00012303
	s_lshr_b32 s61, s82, 24                                    // 000000006E5C: 8F3D9852
	s_and_b32 s82, s82, 0xffffff                               // 000000006E60: 8652FF52 00FFFFFF
	s_mul_i32 s82, s82, s71                                    // 000000006E68: 92524752
	s_mul_i32 s61, s60, s61                                    // 000000006E6C: 923D3D3C
	s_add_u32 s82, s82, s61                                    // 000000006E70: 80523D52
	v_mul_lo_u32 v7, v4, s82                                   // 000000006E74: D2850007 0000A504
	v_add_u32_e32 v56, v6, v7                                  // 000000006E7C: 68700F06
	v_readlane_b32 s82, v3, 18                                 // 000000006E80: D2890052 00012503
	s_lshr_b32 s61, s82, 24                                    // 000000006E88: 8F3D9852
	s_and_b32 s82, s82, 0xffffff                               // 000000006E8C: 8652FF52 00FFFFFF
	s_mul_i32 s82, s82, s71                                    // 000000006E94: 92524752
	s_mul_i32 s61, s60, s61                                    // 000000006E98: 923D3D3C
	s_add_u32 s82, s82, s61                                    // 000000006E9C: 80523D52
	v_mul_lo_u32 v6, v5, s82                                   // 000000006EA0: D2850006 0000A505
	v_readlane_b32 s82, v3, 19                                 // 000000006EA8: D2890052 00012703
	s_lshr_b32 s61, s82, 24                                    // 000000006EB0: 8F3D9852
	s_and_b32 s82, s82, 0xffffff                               // 000000006EB4: 8652FF52 00FFFFFF
	s_mul_i32 s82, s82, s71                                    // 000000006EBC: 92524752
	s_mul_i32 s61, s60, s61                                    // 000000006EC0: 923D3D3C
	s_add_u32 s82, s82, s61                                    // 000000006EC4: 80523D52
	v_mul_lo_u32 v7, v4, s82                                   // 000000006EC8: D2850007 0000A504
	v_add_u32_e32 v57, v6, v7                                  // 000000006ED0: 68720F06
	v_and_b32_e32 v4, 31, v0                                   // 000000006ED4: 2608009F
	v_lshrrev_b32_e32 v4, 1, v4                                // 000000006ED8: 20080881
	s_cmp_eq_u32 s88, 0                                        // 000000006EDC: BF068058
	s_cselect_b32 s61, 2, 4                                    // 000000006EE0: 853D8482
	v_mul_lo_u32 v4, v4, s61                                   // 000000006EE4: D2850004 00007B04
	v_and_b32_e64 v5, v0, 1                                    // 000000006EEC: D1130005 00010300
	v_add_u32_e32 v4, v4, v5                                   // 000000006EF4: 68080B04
	v_lshlrev_b32_e32 v4, 2, v4                                // 000000006EF8: 24080882
	v_add_u32_e32 v48, v48, v4                                 // 000000006EFC: 68600930
	v_add_u32_e32 v49, v49, v4                                 // 000000006F00: 68620931
	v_add_u32_e32 v50, v50, v4                                 // 000000006F04: 68640932
	v_add_u32_e32 v51, v51, v4                                 // 000000006F08: 68660933
	v_add_u32_e32 v52, v52, v4                                 // 000000006F0C: 68680934
	v_add_u32_e32 v53, v53, v4                                 // 000000006F10: 686A0935
	v_add_u32_e32 v54, v54, v4                                 // 000000006F14: 686C0936
	v_add_u32_e32 v55, v55, v4                                 // 000000006F18: 686E0937
	v_add_u32_e32 v56, v56, v4                                 // 000000006F1C: 68700938
	v_add_u32_e32 v57, v57, v4                                 // 000000006F20: 68720939
	s_waitcnt lgkmcnt(0)                                       // 000000006F24: BF8CC07F
	s_barrier                                                  // 000000006F28: BF8A0000
	ds_read_b32 v64, v21                                       // 000000006F2C: D86C0000 40000015
	ds_read_b32 v65, v21 offset:64                             // 000000006F34: D86C0040 41000015
	ds_read_b32 v66, v21 offset:2176                           // 000000006F3C: D86C0880 42000015
	ds_read_b32 v67, v21 offset:2240                           // 000000006F44: D86C08C0 43000015
	ds_read_b32 v68, v21 offset:4352                           // 000000006F4C: D86C1100 44000015
	ds_read_b32 v69, v21 offset:4416                           // 000000006F54: D86C1140 45000015
	ds_read_b32 v70, v21 offset:6528                           // 000000006F5C: D86C1980 46000015
	ds_read_b32 v71, v21 offset:6592                           // 000000006F64: D86C19C0 47000015
	ds_read_b32 v72, v21 offset:8704                           // 000000006F6C: D86C2200 48000015
	ds_read_b32 v73, v21 offset:8768                           // 000000006F74: D86C2240 49000015
	ds_read_b32 v74, v21 offset:10880                          // 000000006F7C: D86C2A80 4A000015
	ds_read_b32 v75, v21 offset:10944                          // 000000006F84: D86C2AC0 4B000015
	ds_read_b32 v76, v21 offset:13056                          // 000000006F8C: D86C3300 4C000015
	ds_read_b32 v77, v21 offset:13120                          // 000000006F94: D86C3340 4D000015
	ds_read_b32 v78, v21 offset:15232                          // 000000006F9C: D86C3B80 4E000015
	ds_read_b32 v79, v21 offset:15296                          // 000000006FA4: D86C3BC0 4F000015
	ds_read_b32 v80, v21 offset:17408                          // 000000006FAC: D86C4400 50000015
	ds_read_b32 v81, v21 offset:17472                          // 000000006FB4: D86C4440 51000015
	ds_read_b32 v82, v21 offset:19584                          // 000000006FBC: D86C4C80 52000015
	ds_read_b32 v83, v21 offset:19648                          // 000000006FC4: D86C4CC0 53000015
	ds_read_b32 v84, v21 offset:21760                          // 000000006FCC: D86C5500 54000015
	ds_read_b32 v85, v21 offset:21824                          // 000000006FD4: D86C5540 55000015
	ds_read_b32 v86, v21 offset:23936                          // 000000006FDC: D86C5D80 56000015
	ds_read_b32 v87, v21 offset:24000                          // 000000006FE4: D86C5DC0 57000015
	ds_read_b32 v88, v21 offset:26112                          // 000000006FEC: D86C6600 58000015
	ds_read_b32 v89, v21 offset:26176                          // 000000006FF4: D86C6640 59000015
	ds_read_b32 v90, v21 offset:28288                          // 000000006FFC: D86C6E80 5A000015
	ds_read_b32 v91, v21 offset:28352                          // 000000007004: D86C6EC0 5B000015
	ds_read_b32 v92, v21 offset:30464                          // 00000000700C: D86C7700 5C000015
	ds_read_b32 v93, v21 offset:30528                          // 000000007014: D86C7740 5D000015
	ds_read_b32 v94, v21 offset:32640                          // 00000000701C: D86C7F80 5E000015
	ds_read_b32 v95, v21 offset:32704                          // 000000007024: D86C7FC0 5F000015
	ds_read_b32 v96, v21 offset:34816                          // 00000000702C: D86C8800 60000015
	ds_read_b32 v97, v21 offset:34880                          // 000000007034: D86C8840 61000015
	ds_read_b32 v98, v21 offset:36992                          // 00000000703C: D86C9080 62000015
	ds_read_b32 v99, v21 offset:37056                          // 000000007044: D86C90C0 63000015
	ds_read_b32 v100, v21 offset:39168                         // 00000000704C: D86C9900 64000015
	ds_read_b32 v101, v21 offset:39232                         // 000000007054: D86C9940 65000015
	ds_read_b32 v102, v21 offset:41344                         // 00000000705C: D86CA180 66000015
	ds_read_b32 v103, v21 offset:41408                         // 000000007064: D86CA1C0 67000015
	s_waitcnt lgkmcnt(0)                                       // 00000000706C: BF8CC07F
	s_mov_b32 s36, -1                                          // 000000007070: BEA400C1
	s_mov_b32 s37, -1                                          // 000000007074: BEA500C1
	v_mov_b32_e32 v7, 0                                        // 000000007078: 7E0E0280
	s_or_b32 s9, s9, 0x40000                                   // 00000000707C: 8709FF09 00040000
	s_mov_b64 exec, s[36:37]                                   // 000000007084: BEFE0124
	v_mov_b32_e32 v6, v48                                      // 000000007088: 7E0C0330
	s_mov_b64 s[60:61], 0                                      // 00000000708C: BEBC0180
	v_readlane_b32 s82, v3, 0                                  // 000000007090: D2890052 00010103
	s_and_b32 s82, s82, 0xffffff                               // 000000007098: 8652FF52 00FFFFFF
	s_cmp_lt_u32 s82, s66                                      // 0000000070A0: BF0A4252
	s_cselect_b32 s20, s36, s60                                // 0000000070A4: 85143C24
	v_readlane_b32 s82, v3, 1                                  // 0000000070A8: D2890052 00010303
	s_and_b32 s82, s82, 0xffffff                               // 0000000070B0: 8652FF52 00FFFFFF
	s_cmp_lt_u32 s82, s66                                      // 0000000070B8: BF0A4252
	s_cselect_b32 s21, s36, s60                                // 0000000070BC: 85153C24
	s_mov_b64 exec, s[20:21]                                   // 0000000070C0: BEFE0114
	buffer_store_dword v64, v6, s[8:11], 0 offen               // 0000000070C4: E0701000 80024006
	buffer_store_dword v66, v6, s[8:11], 0 offen offset:128    // 0000000070CC: E0701080 80024206
	buffer_store_dword v68, v6, s[8:11], 0 offen offset:256    // 0000000070D4: E0701100 80024406
	buffer_store_dword v70, v6, s[8:11], 0 offen offset:384    // 0000000070DC: E0701180 80024606
	s_mov_b64 exec, s[36:37]                                   // 0000000070E4: BEFE0124
	v_mov_b32_e32 v6, v49                                      // 0000000070E8: 7E0C0331
	s_mov_b64 s[60:61], 0                                      // 0000000070EC: BEBC0180
	v_readlane_b32 s82, v3, 2                                  // 0000000070F0: D2890052 00010503
	s_and_b32 s82, s82, 0xffffff                               // 0000000070F8: 8652FF52 00FFFFFF
	s_cmp_lt_u32 s82, s66                                      // 000000007100: BF0A4252
	s_cselect_b32 s20, s36, s60                                // 000000007104: 85143C24
	v_readlane_b32 s82, v3, 3                                  // 000000007108: D2890052 00010703
	s_and_b32 s82, s82, 0xffffff                               // 000000007110: 8652FF52 00FFFFFF
	s_cmp_lt_u32 s82, s66                                      // 000000007118: BF0A4252
	s_cselect_b32 s21, s36, s60                                // 00000000711C: 85153C24
	s_mov_b64 exec, s[20:21]                                   // 000000007120: BEFE0114
	buffer_store_dword v65, v6, s[8:11], 0 offen               // 000000007124: E0701000 80024106
	buffer_store_dword v67, v6, s[8:11], 0 offen offset:128    // 00000000712C: E0701080 80024306
	buffer_store_dword v69, v6, s[8:11], 0 offen offset:256    // 000000007134: E0701100 80024506
	buffer_store_dword v71, v6, s[8:11], 0 offen offset:384    // 00000000713C: E0701180 80024706
	s_mov_b64 exec, s[36:37]                                   // 000000007144: BEFE0124
	v_mov_b32_e32 v6, v50                                      // 000000007148: 7E0C0332
	s_mov_b64 s[60:61], 0                                      // 00000000714C: BEBC0180
	v_readlane_b32 s82, v3, 4                                  // 000000007150: D2890052 00010903
	s_and_b32 s82, s82, 0xffffff                               // 000000007158: 8652FF52 00FFFFFF
	s_cmp_lt_u32 s82, s66                                      // 000000007160: BF0A4252
	s_cselect_b32 s20, s36, s60                                // 000000007164: 85143C24
	v_readlane_b32 s82, v3, 5                                  // 000000007168: D2890052 00010B03
	s_and_b32 s82, s82, 0xffffff                               // 000000007170: 8652FF52 00FFFFFF
	s_cmp_lt_u32 s82, s66                                      // 000000007178: BF0A4252
	s_cselect_b32 s21, s36, s60                                // 00000000717C: 85153C24
	s_mov_b64 exec, s[20:21]                                   // 000000007180: BEFE0114
	buffer_store_dword v72, v6, s[8:11], 0 offen               // 000000007184: E0701000 80024806
	buffer_store_dword v74, v6, s[8:11], 0 offen offset:128    // 00000000718C: E0701080 80024A06
	buffer_store_dword v76, v6, s[8:11], 0 offen offset:256    // 000000007194: E0701100 80024C06
	buffer_store_dword v78, v6, s[8:11], 0 offen offset:384    // 00000000719C: E0701180 80024E06
	s_mov_b64 exec, s[36:37]                                   // 0000000071A4: BEFE0124
	v_mov_b32_e32 v6, v51                                      // 0000000071A8: 7E0C0333
	s_mov_b64 s[60:61], 0                                      // 0000000071AC: BEBC0180
	v_readlane_b32 s82, v3, 6                                  // 0000000071B0: D2890052 00010D03
	s_and_b32 s82, s82, 0xffffff                               // 0000000071B8: 8652FF52 00FFFFFF
	s_cmp_lt_u32 s82, s66                                      // 0000000071C0: BF0A4252
	s_cselect_b32 s20, s36, s60                                // 0000000071C4: 85143C24
	v_readlane_b32 s82, v3, 7                                  // 0000000071C8: D2890052 00010F03
	s_and_b32 s82, s82, 0xffffff                               // 0000000071D0: 8652FF52 00FFFFFF
	s_cmp_lt_u32 s82, s66                                      // 0000000071D8: BF0A4252
	s_cselect_b32 s21, s36, s60                                // 0000000071DC: 85153C24
	s_mov_b64 exec, s[20:21]                                   // 0000000071E0: BEFE0114
	buffer_store_dword v73, v6, s[8:11], 0 offen               // 0000000071E4: E0701000 80024906
	buffer_store_dword v75, v6, s[8:11], 0 offen offset:128    // 0000000071EC: E0701080 80024B06
	buffer_store_dword v77, v6, s[8:11], 0 offen offset:256    // 0000000071F4: E0701100 80024D06
	buffer_store_dword v79, v6, s[8:11], 0 offen offset:384    // 0000000071FC: E0701180 80024F06
	s_mov_b64 exec, s[36:37]                                   // 000000007204: BEFE0124
	v_mov_b32_e32 v6, v52                                      // 000000007208: 7E0C0334
	s_mov_b64 s[60:61], 0                                      // 00000000720C: BEBC0180
	v_readlane_b32 s82, v3, 8                                  // 000000007210: D2890052 00011103
	s_and_b32 s82, s82, 0xffffff                               // 000000007218: 8652FF52 00FFFFFF
	s_cmp_lt_u32 s82, s66                                      // 000000007220: BF0A4252
	s_cselect_b32 s20, s36, s60                                // 000000007224: 85143C24
	v_readlane_b32 s82, v3, 9                                  // 000000007228: D2890052 00011303
	s_and_b32 s82, s82, 0xffffff                               // 000000007230: 8652FF52 00FFFFFF
	s_cmp_lt_u32 s82, s66                                      // 000000007238: BF0A4252
	s_cselect_b32 s21, s36, s60                                // 00000000723C: 85153C24
	s_mov_b64 exec, s[20:21]                                   // 000000007240: BEFE0114
	buffer_store_dword v80, v6, s[8:11], 0 offen               // 000000007244: E0701000 80025006
	buffer_store_dword v82, v6, s[8:11], 0 offen offset:128    // 00000000724C: E0701080 80025206
	buffer_store_dword v84, v6, s[8:11], 0 offen offset:256    // 000000007254: E0701100 80025406
	buffer_store_dword v86, v6, s[8:11], 0 offen offset:384    // 00000000725C: E0701180 80025606
	s_mov_b64 exec, s[36:37]                                   // 000000007264: BEFE0124
	v_mov_b32_e32 v6, v53                                      // 000000007268: 7E0C0335
	s_mov_b64 s[60:61], 0                                      // 00000000726C: BEBC0180
	v_readlane_b32 s82, v3, 10                                 // 000000007270: D2890052 00011503
	s_and_b32 s82, s82, 0xffffff                               // 000000007278: 8652FF52 00FFFFFF
	s_cmp_lt_u32 s82, s66                                      // 000000007280: BF0A4252
	s_cselect_b32 s20, s36, s60                                // 000000007284: 85143C24
	v_readlane_b32 s82, v3, 11                                 // 000000007288: D2890052 00011703
	s_and_b32 s82, s82, 0xffffff                               // 000000007290: 8652FF52 00FFFFFF
	s_cmp_lt_u32 s82, s66                                      // 000000007298: BF0A4252
	s_cselect_b32 s21, s36, s60                                // 00000000729C: 85153C24
	s_mov_b64 exec, s[20:21]                                   // 0000000072A0: BEFE0114
	buffer_store_dword v81, v6, s[8:11], 0 offen               // 0000000072A4: E0701000 80025106
	buffer_store_dword v83, v6, s[8:11], 0 offen offset:128    // 0000000072AC: E0701080 80025306
	buffer_store_dword v85, v6, s[8:11], 0 offen offset:256    // 0000000072B4: E0701100 80025506
	buffer_store_dword v87, v6, s[8:11], 0 offen offset:384    // 0000000072BC: E0701180 80025706
	s_mov_b64 exec, s[36:37]                                   // 0000000072C4: BEFE0124
	v_mov_b32_e32 v6, v54                                      // 0000000072C8: 7E0C0336
	s_mov_b64 s[60:61], 0                                      // 0000000072CC: BEBC0180
	v_readlane_b32 s82, v3, 12                                 // 0000000072D0: D2890052 00011903
	s_and_b32 s82, s82, 0xffffff                               // 0000000072D8: 8652FF52 00FFFFFF
	s_cmp_lt_u32 s82, s66                                      // 0000000072E0: BF0A4252
	s_cselect_b32 s20, s36, s60                                // 0000000072E4: 85143C24
	v_readlane_b32 s82, v3, 13                                 // 0000000072E8: D2890052 00011B03
	s_and_b32 s82, s82, 0xffffff                               // 0000000072F0: 8652FF52 00FFFFFF
	s_cmp_lt_u32 s82, s66                                      // 0000000072F8: BF0A4252
	s_cselect_b32 s21, s36, s60                                // 0000000072FC: 85153C24
	s_mov_b64 exec, s[20:21]                                   // 000000007300: BEFE0114
	buffer_store_dword v88, v6, s[8:11], 0 offen               // 000000007304: E0701000 80025806
	buffer_store_dword v90, v6, s[8:11], 0 offen offset:128    // 00000000730C: E0701080 80025A06
	buffer_store_dword v92, v6, s[8:11], 0 offen offset:256    // 000000007314: E0701100 80025C06
	buffer_store_dword v94, v6, s[8:11], 0 offen offset:384    // 00000000731C: E0701180 80025E06
	s_mov_b64 exec, s[36:37]                                   // 000000007324: BEFE0124
	v_mov_b32_e32 v6, v55                                      // 000000007328: 7E0C0337
	s_mov_b64 s[60:61], 0                                      // 00000000732C: BEBC0180
	v_readlane_b32 s82, v3, 14                                 // 000000007330: D2890052 00011D03
	s_and_b32 s82, s82, 0xffffff                               // 000000007338: 8652FF52 00FFFFFF
	s_cmp_lt_u32 s82, s66                                      // 000000007340: BF0A4252
	s_cselect_b32 s20, s36, s60                                // 000000007344: 85143C24
	v_readlane_b32 s82, v3, 15                                 // 000000007348: D2890052 00011F03
	s_and_b32 s82, s82, 0xffffff                               // 000000007350: 8652FF52 00FFFFFF
	s_cmp_lt_u32 s82, s66                                      // 000000007358: BF0A4252
	s_cselect_b32 s21, s36, s60                                // 00000000735C: 85153C24
	s_mov_b64 exec, s[20:21]                                   // 000000007360: BEFE0114
	buffer_store_dword v89, v6, s[8:11], 0 offen               // 000000007364: E0701000 80025906
	buffer_store_dword v91, v6, s[8:11], 0 offen offset:128    // 00000000736C: E0701080 80025B06
	buffer_store_dword v93, v6, s[8:11], 0 offen offset:256    // 000000007374: E0701100 80025D06
	buffer_store_dword v95, v6, s[8:11], 0 offen offset:384    // 00000000737C: E0701180 80025F06
	s_mov_b64 exec, s[36:37]                                   // 000000007384: BEFE0124
	v_mov_b32_e32 v6, v56                                      // 000000007388: 7E0C0338
	s_mov_b64 s[60:61], 0                                      // 00000000738C: BEBC0180
	v_readlane_b32 s82, v3, 16                                 // 000000007390: D2890052 00012103
	s_and_b32 s82, s82, 0xffffff                               // 000000007398: 8652FF52 00FFFFFF
	s_cmp_lt_u32 s82, s66                                      // 0000000073A0: BF0A4252
	s_cselect_b32 s20, s36, s60                                // 0000000073A4: 85143C24
	v_readlane_b32 s82, v3, 17                                 // 0000000073A8: D2890052 00012303
	s_and_b32 s82, s82, 0xffffff                               // 0000000073B0: 8652FF52 00FFFFFF
	s_cmp_lt_u32 s82, s66                                      // 0000000073B8: BF0A4252
	s_cselect_b32 s21, s36, s60                                // 0000000073BC: 85153C24
	s_mov_b64 exec, s[20:21]                                   // 0000000073C0: BEFE0114
	buffer_store_dword v96, v6, s[8:11], 0 offen               // 0000000073C4: E0701000 80026006
	buffer_store_dword v98, v6, s[8:11], 0 offen offset:128    // 0000000073CC: E0701080 80026206
	buffer_store_dword v100, v6, s[8:11], 0 offen offset:256   // 0000000073D4: E0701100 80026406
	buffer_store_dword v102, v6, s[8:11], 0 offen offset:384   // 0000000073DC: E0701180 80026606
	s_mov_b64 exec, s[36:37]                                   // 0000000073E4: BEFE0124
	v_mov_b32_e32 v6, v57                                      // 0000000073E8: 7E0C0339
	s_mov_b64 s[60:61], 0                                      // 0000000073EC: BEBC0180
	v_readlane_b32 s82, v3, 18                                 // 0000000073F0: D2890052 00012503
	s_and_b32 s82, s82, 0xffffff                               // 0000000073F8: 8652FF52 00FFFFFF
	s_cmp_lt_u32 s82, s66                                      // 000000007400: BF0A4252
	s_cselect_b32 s20, s36, s60                                // 000000007404: 85143C24
	v_readlane_b32 s82, v3, 19                                 // 000000007408: D2890052 00012703
	s_and_b32 s82, s82, 0xffffff                               // 000000007410: 8652FF52 00FFFFFF
	s_cmp_lt_u32 s82, s66                                      // 000000007418: BF0A4252
	s_cselect_b32 s21, s36, s60                                // 00000000741C: 85153C24
	s_mov_b64 exec, s[20:21]                                   // 000000007420: BEFE0114
	buffer_store_dword v97, v6, s[8:11], 0 offen               // 000000007424: E0701000 80026106
	buffer_store_dword v99, v6, s[8:11], 0 offen offset:128    // 00000000742C: E0701080 80026306
	buffer_store_dword v101, v6, s[8:11], 0 offen offset:256   // 000000007434: E0701100 80026506
	buffer_store_dword v103, v6, s[8:11], 0 offen offset:384   // 00000000743C: E0701180 80026706
	s_mov_b64 exec, s[36:37]                                   // 000000007444: BEFE0124
	s_branch label_2F70                                        // 000000007448: BF821CDA

000000000000744c <label_1293>:
	ds_write_b64 v20, v[64:65]                                 // 00000000744C: D89A0000 00004014
	ds_write_b64 v20, v[68:69] offset:8704                     // 000000007454: D89A2200 00004414
	ds_write_b64 v20, v[72:73] offset:17408                    // 00000000745C: D89A4400 00004814
	ds_write_b64 v20, v[76:77] offset:26112                    // 000000007464: D89A6600 00004C14
	ds_write_b64 v20, v[80:81] offset:34816                    // 00000000746C: D89A8800 00005014
	ds_write_b64 v20, v[84:85] offset:2176                     // 000000007474: D89A0880 00005414
	ds_write_b64 v20, v[88:89] offset:10880                    // 00000000747C: D89A2A80 00005814
	ds_write_b64 v20, v[92:93] offset:19584                    // 000000007484: D89A4C80 00005C14
	ds_write_b64 v20, v[96:97] offset:28288                    // 00000000748C: D89A6E80 00006014
	ds_write_b64 v20, v[100:101] offset:36992                  // 000000007494: D89A9080 00006414
	ds_write_b64 v20, v[104:105] offset:4352                   // 00000000749C: D89A1100 00006814
	ds_write_b64 v20, v[108:109] offset:13056                  // 0000000074A4: D89A3300 00006C14
	ds_write_b64 v20, v[112:113] offset:21760                  // 0000000074AC: D89A5500 00007014
	ds_write_b64 v20, v[116:117] offset:30464                  // 0000000074B4: D89A7700 00007414
	ds_write_b64 v20, v[120:121] offset:39168                  // 0000000074BC: D89A9900 00007814
	ds_write_b64 v20, v[124:125] offset:6528                   // 0000000074C4: D89A1980 00007C14
	ds_write_b64 v20, v[128:129] offset:15232                  // 0000000074CC: D89A3B80 00008014
	ds_write_b64 v20, v[132:133] offset:23936                  // 0000000074D4: D89A5D80 00008414
	ds_write_b64 v20, v[136:137] offset:32640                  // 0000000074DC: D89A7F80 00008814
	ds_write_b64 v20, v[140:141] offset:41344                  // 0000000074E4: D89AA180 00008C14
	v_lshrrev_b32_e32 v4, 5, v0                                // 0000000074EC: 20080085
	v_xor_b32_e32 v5, 1, v4                                    // 0000000074F0: 2A0A0881
	s_mul_i32 s60, s65, 2                                      // 0000000074F4: 923C8241
	s_cmp_eq_u32 s88, 0                                        // 0000000074F8: BF068058
	s_cselect_b32 s61, 1, 4                                    // 0000000074FC: 853D8481
	s_mul_i32 s60, s61, s60                                    // 000000007500: 923C3C3D
	v_readlane_b32 s82, v3, 0                                  // 000000007504: D2890052 00010103
	s_lshr_b32 s61, s82, 24                                    // 00000000750C: 8F3D9852
	s_and_b32 s82, s82, 0xffffff                               // 000000007510: 8652FF52 00FFFFFF
	s_mul_i32 s82, s82, s71                                    // 000000007518: 92524752
	s_mul_i32 s61, s60, s61                                    // 00000000751C: 923D3D3C
	s_add_u32 s82, s82, s61                                    // 000000007520: 80523D52
	v_mul_lo_u32 v6, v5, s82                                   // 000000007524: D2850006 0000A505
	v_readlane_b32 s82, v3, 1                                  // 00000000752C: D2890052 00010303
	s_lshr_b32 s61, s82, 24                                    // 000000007534: 8F3D9852
	s_and_b32 s82, s82, 0xffffff                               // 000000007538: 8652FF52 00FFFFFF
	s_mul_i32 s82, s82, s71                                    // 000000007540: 92524752
	s_mul_i32 s61, s60, s61                                    // 000000007544: 923D3D3C
	s_add_u32 s82, s82, s61                                    // 000000007548: 80523D52
	v_mul_lo_u32 v7, v4, s82                                   // 00000000754C: D2850007 0000A504
	v_add_u32_e32 v48, v6, v7                                  // 000000007554: 68600F06
	v_readlane_b32 s82, v3, 2                                  // 000000007558: D2890052 00010503
	s_lshr_b32 s61, s82, 24                                    // 000000007560: 8F3D9852
	s_and_b32 s82, s82, 0xffffff                               // 000000007564: 8652FF52 00FFFFFF
	s_mul_i32 s82, s82, s71                                    // 00000000756C: 92524752
	s_mul_i32 s61, s60, s61                                    // 000000007570: 923D3D3C
	s_add_u32 s82, s82, s61                                    // 000000007574: 80523D52
	v_mul_lo_u32 v6, v5, s82                                   // 000000007578: D2850006 0000A505
	v_readlane_b32 s82, v3, 3                                  // 000000007580: D2890052 00010703
	s_lshr_b32 s61, s82, 24                                    // 000000007588: 8F3D9852
	s_and_b32 s82, s82, 0xffffff                               // 00000000758C: 8652FF52 00FFFFFF
	s_mul_i32 s82, s82, s71                                    // 000000007594: 92524752
	s_mul_i32 s61, s60, s61                                    // 000000007598: 923D3D3C
	s_add_u32 s82, s82, s61                                    // 00000000759C: 80523D52
	v_mul_lo_u32 v7, v4, s82                                   // 0000000075A0: D2850007 0000A504
	v_add_u32_e32 v49, v6, v7                                  // 0000000075A8: 68620F06
	v_readlane_b32 s82, v3, 4                                  // 0000000075AC: D2890052 00010903
	s_lshr_b32 s61, s82, 24                                    // 0000000075B4: 8F3D9852
	s_and_b32 s82, s82, 0xffffff                               // 0000000075B8: 8652FF52 00FFFFFF
	s_mul_i32 s82, s82, s71                                    // 0000000075C0: 92524752
	s_mul_i32 s61, s60, s61                                    // 0000000075C4: 923D3D3C
	s_add_u32 s82, s82, s61                                    // 0000000075C8: 80523D52
	v_mul_lo_u32 v6, v5, s82                                   // 0000000075CC: D2850006 0000A505
	v_readlane_b32 s82, v3, 5                                  // 0000000075D4: D2890052 00010B03
	s_lshr_b32 s61, s82, 24                                    // 0000000075DC: 8F3D9852
	s_and_b32 s82, s82, 0xffffff                               // 0000000075E0: 8652FF52 00FFFFFF
	s_mul_i32 s82, s82, s71                                    // 0000000075E8: 92524752
	s_mul_i32 s61, s60, s61                                    // 0000000075EC: 923D3D3C
	s_add_u32 s82, s82, s61                                    // 0000000075F0: 80523D52
	v_mul_lo_u32 v7, v4, s82                                   // 0000000075F4: D2850007 0000A504
	v_add_u32_e32 v50, v6, v7                                  // 0000000075FC: 68640F06
	v_readlane_b32 s82, v3, 6                                  // 000000007600: D2890052 00010D03
	s_lshr_b32 s61, s82, 24                                    // 000000007608: 8F3D9852
	s_and_b32 s82, s82, 0xffffff                               // 00000000760C: 8652FF52 00FFFFFF
	s_mul_i32 s82, s82, s71                                    // 000000007614: 92524752
	s_mul_i32 s61, s60, s61                                    // 000000007618: 923D3D3C
	s_add_u32 s82, s82, s61                                    // 00000000761C: 80523D52
	v_mul_lo_u32 v6, v5, s82                                   // 000000007620: D2850006 0000A505
	v_readlane_b32 s82, v3, 7                                  // 000000007628: D2890052 00010F03
	s_lshr_b32 s61, s82, 24                                    // 000000007630: 8F3D9852
	s_and_b32 s82, s82, 0xffffff                               // 000000007634: 8652FF52 00FFFFFF
	s_mul_i32 s82, s82, s71                                    // 00000000763C: 92524752
	s_mul_i32 s61, s60, s61                                    // 000000007640: 923D3D3C
	s_add_u32 s82, s82, s61                                    // 000000007644: 80523D52
	v_mul_lo_u32 v7, v4, s82                                   // 000000007648: D2850007 0000A504
	v_add_u32_e32 v51, v6, v7                                  // 000000007650: 68660F06
	v_readlane_b32 s82, v3, 8                                  // 000000007654: D2890052 00011103
	s_lshr_b32 s61, s82, 24                                    // 00000000765C: 8F3D9852
	s_and_b32 s82, s82, 0xffffff                               // 000000007660: 8652FF52 00FFFFFF
	s_mul_i32 s82, s82, s71                                    // 000000007668: 92524752
	s_mul_i32 s61, s60, s61                                    // 00000000766C: 923D3D3C
	s_add_u32 s82, s82, s61                                    // 000000007670: 80523D52
	v_mul_lo_u32 v6, v5, s82                                   // 000000007674: D2850006 0000A505
	v_readlane_b32 s82, v3, 9                                  // 00000000767C: D2890052 00011303
	s_lshr_b32 s61, s82, 24                                    // 000000007684: 8F3D9852
	s_and_b32 s82, s82, 0xffffff                               // 000000007688: 8652FF52 00FFFFFF
	s_mul_i32 s82, s82, s71                                    // 000000007690: 92524752
	s_mul_i32 s61, s60, s61                                    // 000000007694: 923D3D3C
	s_add_u32 s82, s82, s61                                    // 000000007698: 80523D52
	v_mul_lo_u32 v7, v4, s82                                   // 00000000769C: D2850007 0000A504
	v_add_u32_e32 v52, v6, v7                                  // 0000000076A4: 68680F06
	v_readlane_b32 s82, v3, 10                                 // 0000000076A8: D2890052 00011503
	s_lshr_b32 s61, s82, 24                                    // 0000000076B0: 8F3D9852
	s_and_b32 s82, s82, 0xffffff                               // 0000000076B4: 8652FF52 00FFFFFF
	s_mul_i32 s82, s82, s71                                    // 0000000076BC: 92524752
	s_mul_i32 s61, s60, s61                                    // 0000000076C0: 923D3D3C
	s_add_u32 s82, s82, s61                                    // 0000000076C4: 80523D52
	v_mul_lo_u32 v6, v5, s82                                   // 0000000076C8: D2850006 0000A505
	v_readlane_b32 s82, v3, 11                                 // 0000000076D0: D2890052 00011703
	s_lshr_b32 s61, s82, 24                                    // 0000000076D8: 8F3D9852
	s_and_b32 s82, s82, 0xffffff                               // 0000000076DC: 8652FF52 00FFFFFF
	s_mul_i32 s82, s82, s71                                    // 0000000076E4: 92524752
	s_mul_i32 s61, s60, s61                                    // 0000000076E8: 923D3D3C
	s_add_u32 s82, s82, s61                                    // 0000000076EC: 80523D52
	v_mul_lo_u32 v7, v4, s82                                   // 0000000076F0: D2850007 0000A504
	v_add_u32_e32 v53, v6, v7                                  // 0000000076F8: 686A0F06
	v_readlane_b32 s82, v3, 12                                 // 0000000076FC: D2890052 00011903
	s_lshr_b32 s61, s82, 24                                    // 000000007704: 8F3D9852
	s_and_b32 s82, s82, 0xffffff                               // 000000007708: 8652FF52 00FFFFFF
	s_mul_i32 s82, s82, s71                                    // 000000007710: 92524752
	s_mul_i32 s61, s60, s61                                    // 000000007714: 923D3D3C
	s_add_u32 s82, s82, s61                                    // 000000007718: 80523D52
	v_mul_lo_u32 v6, v5, s82                                   // 00000000771C: D2850006 0000A505
	v_readlane_b32 s82, v3, 13                                 // 000000007724: D2890052 00011B03
	s_lshr_b32 s61, s82, 24                                    // 00000000772C: 8F3D9852
	s_and_b32 s82, s82, 0xffffff                               // 000000007730: 8652FF52 00FFFFFF
	s_mul_i32 s82, s82, s71                                    // 000000007738: 92524752
	s_mul_i32 s61, s60, s61                                    // 00000000773C: 923D3D3C
	s_add_u32 s82, s82, s61                                    // 000000007740: 80523D52
	v_mul_lo_u32 v7, v4, s82                                   // 000000007744: D2850007 0000A504
	v_add_u32_e32 v54, v6, v7                                  // 00000000774C: 686C0F06
	v_readlane_b32 s82, v3, 14                                 // 000000007750: D2890052 00011D03
	s_lshr_b32 s61, s82, 24                                    // 000000007758: 8F3D9852
	s_and_b32 s82, s82, 0xffffff                               // 00000000775C: 8652FF52 00FFFFFF
	s_mul_i32 s82, s82, s71                                    // 000000007764: 92524752
	s_mul_i32 s61, s60, s61                                    // 000000007768: 923D3D3C
	s_add_u32 s82, s82, s61                                    // 00000000776C: 80523D52
	v_mul_lo_u32 v6, v5, s82                                   // 000000007770: D2850006 0000A505
	v_readlane_b32 s82, v3, 15                                 // 000000007778: D2890052 00011F03
	s_lshr_b32 s61, s82, 24                                    // 000000007780: 8F3D9852
	s_and_b32 s82, s82, 0xffffff                               // 000000007784: 8652FF52 00FFFFFF
	s_mul_i32 s82, s82, s71                                    // 00000000778C: 92524752
	s_mul_i32 s61, s60, s61                                    // 000000007790: 923D3D3C
	s_add_u32 s82, s82, s61                                    // 000000007794: 80523D52
	v_mul_lo_u32 v7, v4, s82                                   // 000000007798: D2850007 0000A504
	v_add_u32_e32 v55, v6, v7                                  // 0000000077A0: 686E0F06
	v_readlane_b32 s82, v3, 16                                 // 0000000077A4: D2890052 00012103
	s_lshr_b32 s61, s82, 24                                    // 0000000077AC: 8F3D9852
	s_and_b32 s82, s82, 0xffffff                               // 0000000077B0: 8652FF52 00FFFFFF
	s_mul_i32 s82, s82, s71                                    // 0000000077B8: 92524752
	s_mul_i32 s61, s60, s61                                    // 0000000077BC: 923D3D3C
	s_add_u32 s82, s82, s61                                    // 0000000077C0: 80523D52
	v_mul_lo_u32 v6, v5, s82                                   // 0000000077C4: D2850006 0000A505
	v_readlane_b32 s82, v3, 17                                 // 0000000077CC: D2890052 00012303
	s_lshr_b32 s61, s82, 24                                    // 0000000077D4: 8F3D9852
	s_and_b32 s82, s82, 0xffffff                               // 0000000077D8: 8652FF52 00FFFFFF
	s_mul_i32 s82, s82, s71                                    // 0000000077E0: 92524752
	s_mul_i32 s61, s60, s61                                    // 0000000077E4: 923D3D3C
	s_add_u32 s82, s82, s61                                    // 0000000077E8: 80523D52
	v_mul_lo_u32 v7, v4, s82                                   // 0000000077EC: D2850007 0000A504
	v_add_u32_e32 v56, v6, v7                                  // 0000000077F4: 68700F06
	v_readlane_b32 s82, v3, 18                                 // 0000000077F8: D2890052 00012503
	s_lshr_b32 s61, s82, 24                                    // 000000007800: 8F3D9852
	s_and_b32 s82, s82, 0xffffff                               // 000000007804: 8652FF52 00FFFFFF
	s_mul_i32 s82, s82, s71                                    // 00000000780C: 92524752
	s_mul_i32 s61, s60, s61                                    // 000000007810: 923D3D3C
	s_add_u32 s82, s82, s61                                    // 000000007814: 80523D52
	v_mul_lo_u32 v6, v5, s82                                   // 000000007818: D2850006 0000A505
	v_readlane_b32 s82, v3, 19                                 // 000000007820: D2890052 00012703
	s_lshr_b32 s61, s82, 24                                    // 000000007828: 8F3D9852
	s_and_b32 s82, s82, 0xffffff                               // 00000000782C: 8652FF52 00FFFFFF
	s_mul_i32 s82, s82, s71                                    // 000000007834: 92524752
	s_mul_i32 s61, s60, s61                                    // 000000007838: 923D3D3C
	s_add_u32 s82, s82, s61                                    // 00000000783C: 80523D52
	v_mul_lo_u32 v7, v4, s82                                   // 000000007840: D2850007 0000A504
	v_add_u32_e32 v57, v6, v7                                  // 000000007848: 68720F06
	v_and_b32_e32 v4, 31, v0                                   // 00000000784C: 2608009F
	v_lshrrev_b32_e32 v4, 1, v4                                // 000000007850: 20080881
	s_cmp_eq_u32 s88, 0                                        // 000000007854: BF068058
	s_cselect_b32 s61, 2, 4                                    // 000000007858: 853D8482
	v_mul_lo_u32 v4, v4, s61                                   // 00000000785C: D2850004 00007B04
	v_and_b32_e64 v5, v0, 1                                    // 000000007864: D1130005 00010300
	v_add_u32_e32 v4, v4, v5                                   // 00000000786C: 68080B04
	v_lshlrev_b32_e32 v4, 2, v4                                // 000000007870: 24080882
	v_add_u32_e32 v48, v48, v4                                 // 000000007874: 68600930
	v_add_u32_e32 v49, v49, v4                                 // 000000007878: 68620931
	v_add_u32_e32 v50, v50, v4                                 // 00000000787C: 68640932
	v_add_u32_e32 v51, v51, v4                                 // 000000007880: 68660933
	v_add_u32_e32 v52, v52, v4                                 // 000000007884: 68680934
	v_add_u32_e32 v53, v53, v4                                 // 000000007888: 686A0935
	v_add_u32_e32 v54, v54, v4                                 // 00000000788C: 686C0936
	v_add_u32_e32 v55, v55, v4                                 // 000000007890: 686E0937
	v_add_u32_e32 v56, v56, v4                                 // 000000007894: 68700938
	v_add_u32_e32 v57, v57, v4                                 // 000000007898: 68720939
	s_waitcnt lgkmcnt(0)                                       // 00000000789C: BF8CC07F
	s_barrier                                                  // 0000000078A0: BF8A0000
	ds_read_b32 v64, v21                                       // 0000000078A4: D86C0000 40000015
	ds_read_b32 v65, v21 offset:64                             // 0000000078AC: D86C0040 41000015
	ds_read_b32 v68, v21 offset:2176                           // 0000000078B4: D86C0880 44000015
	ds_read_b32 v69, v21 offset:2240                           // 0000000078BC: D86C08C0 45000015
	ds_read_b32 v72, v21 offset:4352                           // 0000000078C4: D86C1100 48000015
	ds_read_b32 v73, v21 offset:4416                           // 0000000078CC: D86C1140 49000015
	ds_read_b32 v76, v21 offset:6528                           // 0000000078D4: D86C1980 4C000015
	ds_read_b32 v77, v21 offset:6592                           // 0000000078DC: D86C19C0 4D000015
	ds_read_b32 v80, v21 offset:8704                           // 0000000078E4: D86C2200 50000015
	ds_read_b32 v81, v21 offset:8768                           // 0000000078EC: D86C2240 51000015
	ds_read_b32 v84, v21 offset:10880                          // 0000000078F4: D86C2A80 54000015
	ds_read_b32 v85, v21 offset:10944                          // 0000000078FC: D86C2AC0 55000015
	ds_read_b32 v88, v21 offset:13056                          // 000000007904: D86C3300 58000015
	ds_read_b32 v89, v21 offset:13120                          // 00000000790C: D86C3340 59000015
	ds_read_b32 v92, v21 offset:15232                          // 000000007914: D86C3B80 5C000015
	ds_read_b32 v93, v21 offset:15296                          // 00000000791C: D86C3BC0 5D000015
	ds_read_b32 v96, v21 offset:17408                          // 000000007924: D86C4400 60000015
	ds_read_b32 v97, v21 offset:17472                          // 00000000792C: D86C4440 61000015
	ds_read_b32 v100, v21 offset:19584                         // 000000007934: D86C4C80 64000015
	ds_read_b32 v101, v21 offset:19648                         // 00000000793C: D86C4CC0 65000015
	ds_read_b32 v104, v21 offset:21760                         // 000000007944: D86C5500 68000015
	ds_read_b32 v105, v21 offset:21824                         // 00000000794C: D86C5540 69000015
	ds_read_b32 v108, v21 offset:23936                         // 000000007954: D86C5D80 6C000015
	ds_read_b32 v109, v21 offset:24000                         // 00000000795C: D86C5DC0 6D000015
	ds_read_b32 v112, v21 offset:26112                         // 000000007964: D86C6600 70000015
	ds_read_b32 v113, v21 offset:26176                         // 00000000796C: D86C6640 71000015
	ds_read_b32 v116, v21 offset:28288                         // 000000007974: D86C6E80 74000015
	ds_read_b32 v117, v21 offset:28352                         // 00000000797C: D86C6EC0 75000015
	ds_read_b32 v120, v21 offset:30464                         // 000000007984: D86C7700 78000015
	ds_read_b32 v121, v21 offset:30528                         // 00000000798C: D86C7740 79000015
	ds_read_b32 v124, v21 offset:32640                         // 000000007994: D86C7F80 7C000015
	ds_read_b32 v125, v21 offset:32704                         // 00000000799C: D86C7FC0 7D000015
	ds_read_b32 v128, v21 offset:34816                         // 0000000079A4: D86C8800 80000015
	ds_read_b32 v129, v21 offset:34880                         // 0000000079AC: D86C8840 81000015
	ds_read_b32 v132, v21 offset:36992                         // 0000000079B4: D86C9080 84000015
	ds_read_b32 v133, v21 offset:37056                         // 0000000079BC: D86C90C0 85000015
	ds_read_b32 v136, v21 offset:39168                         // 0000000079C4: D86C9900 88000015
	ds_read_b32 v137, v21 offset:39232                         // 0000000079CC: D86C9940 89000015
	ds_read_b32 v140, v21 offset:41344                         // 0000000079D4: D86CA180 8C000015
	ds_read_b32 v141, v21 offset:41408                         // 0000000079DC: D86CA1C0 8D000015
	s_waitcnt lgkmcnt(0)                                       // 0000000079E4: BF8CC07F
	s_mov_b32 s36, -1                                          // 0000000079E8: BEA400C1
	s_mov_b32 s37, -1                                          // 0000000079EC: BEA500C1
	v_mov_b32_e32 v7, 0                                        // 0000000079F0: 7E0E0280
	s_mov_b64 exec, s[36:37]                                   // 0000000079F4: BEFE0124
	v_mov_b32_e32 v6, v48                                      // 0000000079F8: 7E0C0330
	s_mov_b64 s[60:61], 0                                      // 0000000079FC: BEBC0180
	v_readlane_b32 s82, v3, 0                                  // 000000007A00: D2890052 00010103
	s_and_b32 s82, s82, 0xffffff                               // 000000007A08: 8652FF52 00FFFFFF
	s_cmp_lt_u32 s82, s66                                      // 000000007A10: BF0A4252
	s_cselect_b32 s20, s36, s60                                // 000000007A14: 85143C24
	v_readlane_b32 s82, v3, 1                                  // 000000007A18: D2890052 00010303
	s_and_b32 s82, s82, 0xffffff                               // 000000007A20: 8652FF52 00FFFFFF
	s_cmp_lt_u32 s82, s66                                      // 000000007A28: BF0A4252
	s_cselect_b32 s21, s36, s60                                // 000000007A2C: 85153C24
	s_mov_b64 exec, s[20:21]                                   // 000000007A30: BEFE0114
	global_atomic_add_f32 v6, v64, s[8:9]                      // 000000007A34: DD348000 00084006
	global_atomic_add_f32 v6, v68, s[8:9] offset:256           // 000000007A3C: DD348100 00084406
	global_atomic_add_f32 v6, v72, s[8:9] offset:512           // 000000007A44: DD348200 00084806
	global_atomic_add_f32 v6, v76, s[8:9] offset:768           // 000000007A4C: DD348300 00084C06
	s_mov_b64 exec, s[36:37]                                   // 000000007A54: BEFE0124
	v_mov_b32_e32 v6, v49                                      // 000000007A58: 7E0C0331
	s_mov_b64 s[60:61], 0                                      // 000000007A5C: BEBC0180
	v_readlane_b32 s82, v3, 2                                  // 000000007A60: D2890052 00010503
	s_and_b32 s82, s82, 0xffffff                               // 000000007A68: 8652FF52 00FFFFFF
	s_cmp_lt_u32 s82, s66                                      // 000000007A70: BF0A4252
	s_cselect_b32 s20, s36, s60                                // 000000007A74: 85143C24
	v_readlane_b32 s82, v3, 3                                  // 000000007A78: D2890052 00010703
	s_and_b32 s82, s82, 0xffffff                               // 000000007A80: 8652FF52 00FFFFFF
	s_cmp_lt_u32 s82, s66                                      // 000000007A88: BF0A4252
	s_cselect_b32 s21, s36, s60                                // 000000007A8C: 85153C24
	s_mov_b64 exec, s[20:21]                                   // 000000007A90: BEFE0114
	global_atomic_add_f32 v6, v65, s[8:9]                      // 000000007A94: DD348000 00084106
	global_atomic_add_f32 v6, v69, s[8:9] offset:256           // 000000007A9C: DD348100 00084506
	global_atomic_add_f32 v6, v73, s[8:9] offset:512           // 000000007AA4: DD348200 00084906
	global_atomic_add_f32 v6, v77, s[8:9] offset:768           // 000000007AAC: DD348300 00084D06
	s_mov_b64 exec, s[36:37]                                   // 000000007AB4: BEFE0124
	v_mov_b32_e32 v6, v50                                      // 000000007AB8: 7E0C0332
	s_mov_b64 s[60:61], 0                                      // 000000007ABC: BEBC0180
	v_readlane_b32 s82, v3, 4                                  // 000000007AC0: D2890052 00010903
	s_and_b32 s82, s82, 0xffffff                               // 000000007AC8: 8652FF52 00FFFFFF
	s_cmp_lt_u32 s82, s66                                      // 000000007AD0: BF0A4252
	s_cselect_b32 s20, s36, s60                                // 000000007AD4: 85143C24
	v_readlane_b32 s82, v3, 5                                  // 000000007AD8: D2890052 00010B03
	s_and_b32 s82, s82, 0xffffff                               // 000000007AE0: 8652FF52 00FFFFFF
	s_cmp_lt_u32 s82, s66                                      // 000000007AE8: BF0A4252
	s_cselect_b32 s21, s36, s60                                // 000000007AEC: 85153C24
	s_mov_b64 exec, s[20:21]                                   // 000000007AF0: BEFE0114
	global_atomic_add_f32 v6, v80, s[8:9]                      // 000000007AF4: DD348000 00085006
	global_atomic_add_f32 v6, v84, s[8:9] offset:256           // 000000007AFC: DD348100 00085406
	global_atomic_add_f32 v6, v88, s[8:9] offset:512           // 000000007B04: DD348200 00085806
	global_atomic_add_f32 v6, v92, s[8:9] offset:768           // 000000007B0C: DD348300 00085C06
	s_mov_b64 exec, s[36:37]                                   // 000000007B14: BEFE0124
	v_mov_b32_e32 v6, v51                                      // 000000007B18: 7E0C0333
	s_mov_b64 s[60:61], 0                                      // 000000007B1C: BEBC0180
	v_readlane_b32 s82, v3, 6                                  // 000000007B20: D2890052 00010D03
	s_and_b32 s82, s82, 0xffffff                               // 000000007B28: 8652FF52 00FFFFFF
	s_cmp_lt_u32 s82, s66                                      // 000000007B30: BF0A4252
	s_cselect_b32 s20, s36, s60                                // 000000007B34: 85143C24
	v_readlane_b32 s82, v3, 7                                  // 000000007B38: D2890052 00010F03
	s_and_b32 s82, s82, 0xffffff                               // 000000007B40: 8652FF52 00FFFFFF
	s_cmp_lt_u32 s82, s66                                      // 000000007B48: BF0A4252
	s_cselect_b32 s21, s36, s60                                // 000000007B4C: 85153C24
	s_mov_b64 exec, s[20:21]                                   // 000000007B50: BEFE0114
	global_atomic_add_f32 v6, v81, s[8:9]                      // 000000007B54: DD348000 00085106
	global_atomic_add_f32 v6, v85, s[8:9] offset:256           // 000000007B5C: DD348100 00085506
	global_atomic_add_f32 v6, v89, s[8:9] offset:512           // 000000007B64: DD348200 00085906
	global_atomic_add_f32 v6, v93, s[8:9] offset:768           // 000000007B6C: DD348300 00085D06
	s_mov_b64 exec, s[36:37]                                   // 000000007B74: BEFE0124
	v_mov_b32_e32 v6, v52                                      // 000000007B78: 7E0C0334
	s_mov_b64 s[60:61], 0                                      // 000000007B7C: BEBC0180
	v_readlane_b32 s82, v3, 8                                  // 000000007B80: D2890052 00011103
	s_and_b32 s82, s82, 0xffffff                               // 000000007B88: 8652FF52 00FFFFFF
	s_cmp_lt_u32 s82, s66                                      // 000000007B90: BF0A4252
	s_cselect_b32 s20, s36, s60                                // 000000007B94: 85143C24
	v_readlane_b32 s82, v3, 9                                  // 000000007B98: D2890052 00011303
	s_and_b32 s82, s82, 0xffffff                               // 000000007BA0: 8652FF52 00FFFFFF
	s_cmp_lt_u32 s82, s66                                      // 000000007BA8: BF0A4252
	s_cselect_b32 s21, s36, s60                                // 000000007BAC: 85153C24
	s_mov_b64 exec, s[20:21]                                   // 000000007BB0: BEFE0114
	global_atomic_add_f32 v6, v96, s[8:9]                      // 000000007BB4: DD348000 00086006
	global_atomic_add_f32 v6, v100, s[8:9] offset:256          // 000000007BBC: DD348100 00086406
	global_atomic_add_f32 v6, v104, s[8:9] offset:512          // 000000007BC4: DD348200 00086806
	global_atomic_add_f32 v6, v108, s[8:9] offset:768          // 000000007BCC: DD348300 00086C06
	s_mov_b64 exec, s[36:37]                                   // 000000007BD4: BEFE0124
	v_mov_b32_e32 v6, v53                                      // 000000007BD8: 7E0C0335
	s_mov_b64 s[60:61], 0                                      // 000000007BDC: BEBC0180
	v_readlane_b32 s82, v3, 10                                 // 000000007BE0: D2890052 00011503
	s_and_b32 s82, s82, 0xffffff                               // 000000007BE8: 8652FF52 00FFFFFF
	s_cmp_lt_u32 s82, s66                                      // 000000007BF0: BF0A4252
	s_cselect_b32 s20, s36, s60                                // 000000007BF4: 85143C24
	v_readlane_b32 s82, v3, 11                                 // 000000007BF8: D2890052 00011703
	s_and_b32 s82, s82, 0xffffff                               // 000000007C00: 8652FF52 00FFFFFF
	s_cmp_lt_u32 s82, s66                                      // 000000007C08: BF0A4252
	s_cselect_b32 s21, s36, s60                                // 000000007C0C: 85153C24
	s_mov_b64 exec, s[20:21]                                   // 000000007C10: BEFE0114
	global_atomic_add_f32 v6, v97, s[8:9]                      // 000000007C14: DD348000 00086106
	global_atomic_add_f32 v6, v101, s[8:9] offset:256          // 000000007C1C: DD348100 00086506
	global_atomic_add_f32 v6, v105, s[8:9] offset:512          // 000000007C24: DD348200 00086906
	global_atomic_add_f32 v6, v109, s[8:9] offset:768          // 000000007C2C: DD348300 00086D06
	s_mov_b64 exec, s[36:37]                                   // 000000007C34: BEFE0124
	v_mov_b32_e32 v6, v54                                      // 000000007C38: 7E0C0336
	s_mov_b64 s[60:61], 0                                      // 000000007C3C: BEBC0180
	v_readlane_b32 s82, v3, 12                                 // 000000007C40: D2890052 00011903
	s_and_b32 s82, s82, 0xffffff                               // 000000007C48: 8652FF52 00FFFFFF
	s_cmp_lt_u32 s82, s66                                      // 000000007C50: BF0A4252
	s_cselect_b32 s20, s36, s60                                // 000000007C54: 85143C24
	v_readlane_b32 s82, v3, 13                                 // 000000007C58: D2890052 00011B03
	s_and_b32 s82, s82, 0xffffff                               // 000000007C60: 8652FF52 00FFFFFF
	s_cmp_lt_u32 s82, s66                                      // 000000007C68: BF0A4252
	s_cselect_b32 s21, s36, s60                                // 000000007C6C: 85153C24
	s_mov_b64 exec, s[20:21]                                   // 000000007C70: BEFE0114
	global_atomic_add_f32 v6, v112, s[8:9]                     // 000000007C74: DD348000 00087006
	global_atomic_add_f32 v6, v116, s[8:9] offset:256          // 000000007C7C: DD348100 00087406
	global_atomic_add_f32 v6, v120, s[8:9] offset:512          // 000000007C84: DD348200 00087806
	global_atomic_add_f32 v6, v124, s[8:9] offset:768          // 000000007C8C: DD348300 00087C06
	s_mov_b64 exec, s[36:37]                                   // 000000007C94: BEFE0124
	v_mov_b32_e32 v6, v55                                      // 000000007C98: 7E0C0337
	s_mov_b64 s[60:61], 0                                      // 000000007C9C: BEBC0180
	v_readlane_b32 s82, v3, 14                                 // 000000007CA0: D2890052 00011D03
	s_and_b32 s82, s82, 0xffffff                               // 000000007CA8: 8652FF52 00FFFFFF
	s_cmp_lt_u32 s82, s66                                      // 000000007CB0: BF0A4252
	s_cselect_b32 s20, s36, s60                                // 000000007CB4: 85143C24
	v_readlane_b32 s82, v3, 15                                 // 000000007CB8: D2890052 00011F03
	s_and_b32 s82, s82, 0xffffff                               // 000000007CC0: 8652FF52 00FFFFFF
	s_cmp_lt_u32 s82, s66                                      // 000000007CC8: BF0A4252
	s_cselect_b32 s21, s36, s60                                // 000000007CCC: 85153C24
	s_mov_b64 exec, s[20:21]                                   // 000000007CD0: BEFE0114
	global_atomic_add_f32 v6, v113, s[8:9]                     // 000000007CD4: DD348000 00087106
	global_atomic_add_f32 v6, v117, s[8:9] offset:256          // 000000007CDC: DD348100 00087506
	global_atomic_add_f32 v6, v121, s[8:9] offset:512          // 000000007CE4: DD348200 00087906
	global_atomic_add_f32 v6, v125, s[8:9] offset:768          // 000000007CEC: DD348300 00087D06
	s_mov_b64 exec, s[36:37]                                   // 000000007CF4: BEFE0124
	v_mov_b32_e32 v6, v56                                      // 000000007CF8: 7E0C0338
	s_mov_b64 s[60:61], 0                                      // 000000007CFC: BEBC0180
	v_readlane_b32 s82, v3, 16                                 // 000000007D00: D2890052 00012103
	s_and_b32 s82, s82, 0xffffff                               // 000000007D08: 8652FF52 00FFFFFF
	s_cmp_lt_u32 s82, s66                                      // 000000007D10: BF0A4252
	s_cselect_b32 s20, s36, s60                                // 000000007D14: 85143C24
	v_readlane_b32 s82, v3, 17                                 // 000000007D18: D2890052 00012303
	s_and_b32 s82, s82, 0xffffff                               // 000000007D20: 8652FF52 00FFFFFF
	s_cmp_lt_u32 s82, s66                                      // 000000007D28: BF0A4252
	s_cselect_b32 s21, s36, s60                                // 000000007D2C: 85153C24
	s_mov_b64 exec, s[20:21]                                   // 000000007D30: BEFE0114
	global_atomic_add_f32 v6, v128, s[8:9]                     // 000000007D34: DD348000 00088006
	global_atomic_add_f32 v6, v132, s[8:9] offset:256          // 000000007D3C: DD348100 00088406
	global_atomic_add_f32 v6, v136, s[8:9] offset:512          // 000000007D44: DD348200 00088806
	global_atomic_add_f32 v6, v140, s[8:9] offset:768          // 000000007D4C: DD348300 00088C06
	s_mov_b64 exec, s[36:37]                                   // 000000007D54: BEFE0124
	v_mov_b32_e32 v6, v57                                      // 000000007D58: 7E0C0339
	s_mov_b64 s[60:61], 0                                      // 000000007D5C: BEBC0180
	v_readlane_b32 s82, v3, 18                                 // 000000007D60: D2890052 00012503
	s_and_b32 s82, s82, 0xffffff                               // 000000007D68: 8652FF52 00FFFFFF
	s_cmp_lt_u32 s82, s66                                      // 000000007D70: BF0A4252
	s_cselect_b32 s20, s36, s60                                // 000000007D74: 85143C24
	v_readlane_b32 s82, v3, 19                                 // 000000007D78: D2890052 00012703
	s_and_b32 s82, s82, 0xffffff                               // 000000007D80: 8652FF52 00FFFFFF
	s_cmp_lt_u32 s82, s66                                      // 000000007D88: BF0A4252
	s_cselect_b32 s21, s36, s60                                // 000000007D8C: 85153C24
	s_mov_b64 exec, s[20:21]                                   // 000000007D90: BEFE0114
	global_atomic_add_f32 v6, v129, s[8:9]                     // 000000007D94: DD348000 00088106
	global_atomic_add_f32 v6, v133, s[8:9] offset:256          // 000000007D9C: DD348100 00088506
	global_atomic_add_f32 v6, v137, s[8:9] offset:512          // 000000007DA4: DD348200 00088906
	global_atomic_add_f32 v6, v141, s[8:9] offset:768          // 000000007DAC: DD348300 00088D06
	s_mov_b64 exec, s[36:37]                                   // 000000007DB4: BEFE0124
	ds_write_b64 v20, v[66:67]                                 // 000000007DB8: D89A0000 00004214
	ds_write_b64 v20, v[70:71] offset:8704                     // 000000007DC0: D89A2200 00004614
	ds_write_b64 v20, v[74:75] offset:17408                    // 000000007DC8: D89A4400 00004A14
	ds_write_b64 v20, v[78:79] offset:26112                    // 000000007DD0: D89A6600 00004E14
	ds_write_b64 v20, v[82:83] offset:34816                    // 000000007DD8: D89A8800 00005214
	ds_write_b64 v20, v[86:87] offset:2176                     // 000000007DE0: D89A0880 00005614
	ds_write_b64 v20, v[90:91] offset:10880                    // 000000007DE8: D89A2A80 00005A14
	ds_write_b64 v20, v[94:95] offset:19584                    // 000000007DF0: D89A4C80 00005E14
	ds_write_b64 v20, v[98:99] offset:28288                    // 000000007DF8: D89A6E80 00006214
	ds_write_b64 v20, v[102:103] offset:36992                  // 000000007E00: D89A9080 00006614
	ds_write_b64 v20, v[106:107] offset:4352                   // 000000007E08: D89A1100 00006A14
	ds_write_b64 v20, v[110:111] offset:13056                  // 000000007E10: D89A3300 00006E14
	ds_write_b64 v20, v[114:115] offset:21760                  // 000000007E18: D89A5500 00007214
	ds_write_b64 v20, v[118:119] offset:30464                  // 000000007E20: D89A7700 00007614
	ds_write_b64 v20, v[122:123] offset:39168                  // 000000007E28: D89A9900 00007A14
	ds_write_b64 v20, v[126:127] offset:6528                   // 000000007E30: D89A1980 00007E14
	ds_write_b64 v20, v[130:131] offset:15232                  // 000000007E38: D89A3B80 00008214
	ds_write_b64 v20, v[134:135] offset:23936                  // 000000007E40: D89A5D80 00008614
	ds_write_b64 v20, v[138:139] offset:32640                  // 000000007E48: D89A7F80 00008A14
	ds_write_b64 v20, v[142:143] offset:41344                  // 000000007E50: D89AA180 00008E14
	s_waitcnt lgkmcnt(0)                                       // 000000007E58: BF8CC07F
	s_barrier                                                  // 000000007E5C: BF8A0000
	ds_read_b32 v66, v21                                       // 000000007E60: D86C0000 42000015
	ds_read_b32 v67, v21 offset:64                             // 000000007E68: D86C0040 43000015
	ds_read_b32 v70, v21 offset:2176                           // 000000007E70: D86C0880 46000015
	ds_read_b32 v71, v21 offset:2240                           // 000000007E78: D86C08C0 47000015
	ds_read_b32 v74, v21 offset:4352                           // 000000007E80: D86C1100 4A000015
	ds_read_b32 v75, v21 offset:4416                           // 000000007E88: D86C1140 4B000015
	ds_read_b32 v78, v21 offset:6528                           // 000000007E90: D86C1980 4E000015
	ds_read_b32 v79, v21 offset:6592                           // 000000007E98: D86C19C0 4F000015
	ds_read_b32 v82, v21 offset:8704                           // 000000007EA0: D86C2200 52000015
	ds_read_b32 v83, v21 offset:8768                           // 000000007EA8: D86C2240 53000015
	ds_read_b32 v86, v21 offset:10880                          // 000000007EB0: D86C2A80 56000015
	ds_read_b32 v87, v21 offset:10944                          // 000000007EB8: D86C2AC0 57000015
	ds_read_b32 v90, v21 offset:13056                          // 000000007EC0: D86C3300 5A000015
	ds_read_b32 v91, v21 offset:13120                          // 000000007EC8: D86C3340 5B000015
	ds_read_b32 v94, v21 offset:15232                          // 000000007ED0: D86C3B80 5E000015
	ds_read_b32 v95, v21 offset:15296                          // 000000007ED8: D86C3BC0 5F000015
	ds_read_b32 v98, v21 offset:17408                          // 000000007EE0: D86C4400 62000015
	ds_read_b32 v99, v21 offset:17472                          // 000000007EE8: D86C4440 63000015
	ds_read_b32 v102, v21 offset:19584                         // 000000007EF0: D86C4C80 66000015
	ds_read_b32 v103, v21 offset:19648                         // 000000007EF8: D86C4CC0 67000015
	ds_read_b32 v106, v21 offset:21760                         // 000000007F00: D86C5500 6A000015
	ds_read_b32 v107, v21 offset:21824                         // 000000007F08: D86C5540 6B000015
	ds_read_b32 v110, v21 offset:23936                         // 000000007F10: D86C5D80 6E000015
	ds_read_b32 v111, v21 offset:24000                         // 000000007F18: D86C5DC0 6F000015
	ds_read_b32 v114, v21 offset:26112                         // 000000007F20: D86C6600 72000015
	ds_read_b32 v115, v21 offset:26176                         // 000000007F28: D86C6640 73000015
	ds_read_b32 v118, v21 offset:28288                         // 000000007F30: D86C6E80 76000015
	ds_read_b32 v119, v21 offset:28352                         // 000000007F38: D86C6EC0 77000015
	ds_read_b32 v122, v21 offset:30464                         // 000000007F40: D86C7700 7A000015
	ds_read_b32 v123, v21 offset:30528                         // 000000007F48: D86C7740 7B000015
	ds_read_b32 v126, v21 offset:32640                         // 000000007F50: D86C7F80 7E000015
	ds_read_b32 v127, v21 offset:32704                         // 000000007F58: D86C7FC0 7F000015
	ds_read_b32 v130, v21 offset:34816                         // 000000007F60: D86C8800 82000015
	ds_read_b32 v131, v21 offset:34880                         // 000000007F68: D86C8840 83000015
	ds_read_b32 v134, v21 offset:36992                         // 000000007F70: D86C9080 86000015
	ds_read_b32 v135, v21 offset:37056                         // 000000007F78: D86C90C0 87000015
	ds_read_b32 v138, v21 offset:39168                         // 000000007F80: D86C9900 8A000015
	ds_read_b32 v139, v21 offset:39232                         // 000000007F88: D86C9940 8B000015
	ds_read_b32 v142, v21 offset:41344                         // 000000007F90: D86CA180 8E000015
	ds_read_b32 v143, v21 offset:41408                         // 000000007F98: D86CA1C0 8F000015
	s_waitcnt lgkmcnt(0)                                       // 000000007FA0: BF8CC07F
	v_mov_b32_e32 v7, 0                                        // 000000007FA4: 7E0E0280
	s_mov_b64 exec, s[36:37]                                   // 000000007FA8: BEFE0124
	v_mov_b32_e32 v6, v48                                      // 000000007FAC: 7E0C0330
	s_mov_b64 s[60:61], 0                                      // 000000007FB0: BEBC0180
	v_readlane_b32 s82, v3, 0                                  // 000000007FB4: D2890052 00010103
	s_and_b32 s82, s82, 0xffffff                               // 000000007FBC: 8652FF52 00FFFFFF
	s_cmp_lt_u32 s82, s66                                      // 000000007FC4: BF0A4252
	s_cselect_b32 s20, s36, s60                                // 000000007FC8: 85143C24
	v_readlane_b32 s82, v3, 1                                  // 000000007FCC: D2890052 00010303
	s_and_b32 s82, s82, 0xffffff                               // 000000007FD4: 8652FF52 00FFFFFF
	s_cmp_lt_u32 s82, s66                                      // 000000007FDC: BF0A4252
	s_cselect_b32 s21, s36, s60                                // 000000007FE0: 85153C24
	s_mov_b64 exec, s[20:21]                                   // 000000007FE4: BEFE0114
	global_atomic_add_f32 v6, v66, s[8:9] offset:8             // 000000007FE8: DD348008 00084206
	global_atomic_add_f32 v6, v70, s[8:9] offset:264           // 000000007FF0: DD348108 00084606
	global_atomic_add_f32 v6, v74, s[8:9] offset:520           // 000000007FF8: DD348208 00084A06
	global_atomic_add_f32 v6, v78, s[8:9] offset:776           // 000000008000: DD348308 00084E06
	s_mov_b64 exec, s[36:37]                                   // 000000008008: BEFE0124
	v_mov_b32_e32 v6, v49                                      // 00000000800C: 7E0C0331
	s_mov_b64 s[60:61], 0                                      // 000000008010: BEBC0180
	v_readlane_b32 s82, v3, 2                                  // 000000008014: D2890052 00010503
	s_and_b32 s82, s82, 0xffffff                               // 00000000801C: 8652FF52 00FFFFFF
	s_cmp_lt_u32 s82, s66                                      // 000000008024: BF0A4252
	s_cselect_b32 s20, s36, s60                                // 000000008028: 85143C24
	v_readlane_b32 s82, v3, 3                                  // 00000000802C: D2890052 00010703
	s_and_b32 s82, s82, 0xffffff                               // 000000008034: 8652FF52 00FFFFFF
	s_cmp_lt_u32 s82, s66                                      // 00000000803C: BF0A4252
	s_cselect_b32 s21, s36, s60                                // 000000008040: 85153C24
	s_mov_b64 exec, s[20:21]                                   // 000000008044: BEFE0114
	global_atomic_add_f32 v6, v67, s[8:9] offset:8             // 000000008048: DD348008 00084306
	global_atomic_add_f32 v6, v71, s[8:9] offset:264           // 000000008050: DD348108 00084706
	global_atomic_add_f32 v6, v75, s[8:9] offset:520           // 000000008058: DD348208 00084B06
	global_atomic_add_f32 v6, v79, s[8:9] offset:776           // 000000008060: DD348308 00084F06
	s_mov_b64 exec, s[36:37]                                   // 000000008068: BEFE0124
	v_mov_b32_e32 v6, v50                                      // 00000000806C: 7E0C0332
	s_mov_b64 s[60:61], 0                                      // 000000008070: BEBC0180
	v_readlane_b32 s82, v3, 4                                  // 000000008074: D2890052 00010903
	s_and_b32 s82, s82, 0xffffff                               // 00000000807C: 8652FF52 00FFFFFF
	s_cmp_lt_u32 s82, s66                                      // 000000008084: BF0A4252
	s_cselect_b32 s20, s36, s60                                // 000000008088: 85143C24
	v_readlane_b32 s82, v3, 5                                  // 00000000808C: D2890052 00010B03
	s_and_b32 s82, s82, 0xffffff                               // 000000008094: 8652FF52 00FFFFFF
	s_cmp_lt_u32 s82, s66                                      // 00000000809C: BF0A4252
	s_cselect_b32 s21, s36, s60                                // 0000000080A0: 85153C24
	s_mov_b64 exec, s[20:21]                                   // 0000000080A4: BEFE0114
	global_atomic_add_f32 v6, v82, s[8:9] offset:8             // 0000000080A8: DD348008 00085206
	global_atomic_add_f32 v6, v86, s[8:9] offset:264           // 0000000080B0: DD348108 00085606
	global_atomic_add_f32 v6, v90, s[8:9] offset:520           // 0000000080B8: DD348208 00085A06
	global_atomic_add_f32 v6, v94, s[8:9] offset:776           // 0000000080C0: DD348308 00085E06
	s_mov_b64 exec, s[36:37]                                   // 0000000080C8: BEFE0124
	v_mov_b32_e32 v6, v51                                      // 0000000080CC: 7E0C0333
	s_mov_b64 s[60:61], 0                                      // 0000000080D0: BEBC0180
	v_readlane_b32 s82, v3, 6                                  // 0000000080D4: D2890052 00010D03
	s_and_b32 s82, s82, 0xffffff                               // 0000000080DC: 8652FF52 00FFFFFF
	s_cmp_lt_u32 s82, s66                                      // 0000000080E4: BF0A4252
	s_cselect_b32 s20, s36, s60                                // 0000000080E8: 85143C24
	v_readlane_b32 s82, v3, 7                                  // 0000000080EC: D2890052 00010F03
	s_and_b32 s82, s82, 0xffffff                               // 0000000080F4: 8652FF52 00FFFFFF
	s_cmp_lt_u32 s82, s66                                      // 0000000080FC: BF0A4252
	s_cselect_b32 s21, s36, s60                                // 000000008100: 85153C24
	s_mov_b64 exec, s[20:21]                                   // 000000008104: BEFE0114
	global_atomic_add_f32 v6, v83, s[8:9] offset:8             // 000000008108: DD348008 00085306
	global_atomic_add_f32 v6, v87, s[8:9] offset:264           // 000000008110: DD348108 00085706
	global_atomic_add_f32 v6, v91, s[8:9] offset:520           // 000000008118: DD348208 00085B06
	global_atomic_add_f32 v6, v95, s[8:9] offset:776           // 000000008120: DD348308 00085F06
	s_mov_b64 exec, s[36:37]                                   // 000000008128: BEFE0124
	v_mov_b32_e32 v6, v52                                      // 00000000812C: 7E0C0334
	s_mov_b64 s[60:61], 0                                      // 000000008130: BEBC0180
	v_readlane_b32 s82, v3, 8                                  // 000000008134: D2890052 00011103
	s_and_b32 s82, s82, 0xffffff                               // 00000000813C: 8652FF52 00FFFFFF
	s_cmp_lt_u32 s82, s66                                      // 000000008144: BF0A4252
	s_cselect_b32 s20, s36, s60                                // 000000008148: 85143C24
	v_readlane_b32 s82, v3, 9                                  // 00000000814C: D2890052 00011303
	s_and_b32 s82, s82, 0xffffff                               // 000000008154: 8652FF52 00FFFFFF
	s_cmp_lt_u32 s82, s66                                      // 00000000815C: BF0A4252
	s_cselect_b32 s21, s36, s60                                // 000000008160: 85153C24
	s_mov_b64 exec, s[20:21]                                   // 000000008164: BEFE0114
	global_atomic_add_f32 v6, v98, s[8:9] offset:8             // 000000008168: DD348008 00086206
	global_atomic_add_f32 v6, v102, s[8:9] offset:264          // 000000008170: DD348108 00086606
	global_atomic_add_f32 v6, v106, s[8:9] offset:520          // 000000008178: DD348208 00086A06
	global_atomic_add_f32 v6, v110, s[8:9] offset:776          // 000000008180: DD348308 00086E06
	s_mov_b64 exec, s[36:37]                                   // 000000008188: BEFE0124
	v_mov_b32_e32 v6, v53                                      // 00000000818C: 7E0C0335
	s_mov_b64 s[60:61], 0                                      // 000000008190: BEBC0180
	v_readlane_b32 s82, v3, 10                                 // 000000008194: D2890052 00011503
	s_and_b32 s82, s82, 0xffffff                               // 00000000819C: 8652FF52 00FFFFFF
	s_cmp_lt_u32 s82, s66                                      // 0000000081A4: BF0A4252
	s_cselect_b32 s20, s36, s60                                // 0000000081A8: 85143C24
	v_readlane_b32 s82, v3, 11                                 // 0000000081AC: D2890052 00011703
	s_and_b32 s82, s82, 0xffffff                               // 0000000081B4: 8652FF52 00FFFFFF
	s_cmp_lt_u32 s82, s66                                      // 0000000081BC: BF0A4252
	s_cselect_b32 s21, s36, s60                                // 0000000081C0: 85153C24
	s_mov_b64 exec, s[20:21]                                   // 0000000081C4: BEFE0114
	global_atomic_add_f32 v6, v99, s[8:9] offset:8             // 0000000081C8: DD348008 00086306
	global_atomic_add_f32 v6, v103, s[8:9] offset:264          // 0000000081D0: DD348108 00086706
	global_atomic_add_f32 v6, v107, s[8:9] offset:520          // 0000000081D8: DD348208 00086B06
	global_atomic_add_f32 v6, v111, s[8:9] offset:776          // 0000000081E0: DD348308 00086F06
	s_mov_b64 exec, s[36:37]                                   // 0000000081E8: BEFE0124
	v_mov_b32_e32 v6, v54                                      // 0000000081EC: 7E0C0336
	s_mov_b64 s[60:61], 0                                      // 0000000081F0: BEBC0180
	v_readlane_b32 s82, v3, 12                                 // 0000000081F4: D2890052 00011903
	s_and_b32 s82, s82, 0xffffff                               // 0000000081FC: 8652FF52 00FFFFFF
	s_cmp_lt_u32 s82, s66                                      // 000000008204: BF0A4252
	s_cselect_b32 s20, s36, s60                                // 000000008208: 85143C24
	v_readlane_b32 s82, v3, 13                                 // 00000000820C: D2890052 00011B03
	s_and_b32 s82, s82, 0xffffff                               // 000000008214: 8652FF52 00FFFFFF
	s_cmp_lt_u32 s82, s66                                      // 00000000821C: BF0A4252
	s_cselect_b32 s21, s36, s60                                // 000000008220: 85153C24
	s_mov_b64 exec, s[20:21]                                   // 000000008224: BEFE0114
	global_atomic_add_f32 v6, v114, s[8:9] offset:8            // 000000008228: DD348008 00087206
	global_atomic_add_f32 v6, v118, s[8:9] offset:264          // 000000008230: DD348108 00087606
	global_atomic_add_f32 v6, v122, s[8:9] offset:520          // 000000008238: DD348208 00087A06
	global_atomic_add_f32 v6, v126, s[8:9] offset:776          // 000000008240: DD348308 00087E06
	s_mov_b64 exec, s[36:37]                                   // 000000008248: BEFE0124
	v_mov_b32_e32 v6, v55                                      // 00000000824C: 7E0C0337
	s_mov_b64 s[60:61], 0                                      // 000000008250: BEBC0180
	v_readlane_b32 s82, v3, 14                                 // 000000008254: D2890052 00011D03
	s_and_b32 s82, s82, 0xffffff                               // 00000000825C: 8652FF52 00FFFFFF
	s_cmp_lt_u32 s82, s66                                      // 000000008264: BF0A4252
	s_cselect_b32 s20, s36, s60                                // 000000008268: 85143C24
	v_readlane_b32 s82, v3, 15                                 // 00000000826C: D2890052 00011F03
	s_and_b32 s82, s82, 0xffffff                               // 000000008274: 8652FF52 00FFFFFF
	s_cmp_lt_u32 s82, s66                                      // 00000000827C: BF0A4252
	s_cselect_b32 s21, s36, s60                                // 000000008280: 85153C24
	s_mov_b64 exec, s[20:21]                                   // 000000008284: BEFE0114
	global_atomic_add_f32 v6, v115, s[8:9] offset:8            // 000000008288: DD348008 00087306
	global_atomic_add_f32 v6, v119, s[8:9] offset:264          // 000000008290: DD348108 00087706
	global_atomic_add_f32 v6, v123, s[8:9] offset:520          // 000000008298: DD348208 00087B06
	global_atomic_add_f32 v6, v127, s[8:9] offset:776          // 0000000082A0: DD348308 00087F06
	s_mov_b64 exec, s[36:37]                                   // 0000000082A8: BEFE0124
	v_mov_b32_e32 v6, v56                                      // 0000000082AC: 7E0C0338
	s_mov_b64 s[60:61], 0                                      // 0000000082B0: BEBC0180
	v_readlane_b32 s82, v3, 16                                 // 0000000082B4: D2890052 00012103
	s_and_b32 s82, s82, 0xffffff                               // 0000000082BC: 8652FF52 00FFFFFF
	s_cmp_lt_u32 s82, s66                                      // 0000000082C4: BF0A4252
	s_cselect_b32 s20, s36, s60                                // 0000000082C8: 85143C24
	v_readlane_b32 s82, v3, 17                                 // 0000000082CC: D2890052 00012303
	s_and_b32 s82, s82, 0xffffff                               // 0000000082D4: 8652FF52 00FFFFFF
	s_cmp_lt_u32 s82, s66                                      // 0000000082DC: BF0A4252
	s_cselect_b32 s21, s36, s60                                // 0000000082E0: 85153C24
	s_mov_b64 exec, s[20:21]                                   // 0000000082E4: BEFE0114
	global_atomic_add_f32 v6, v130, s[8:9] offset:8            // 0000000082E8: DD348008 00088206
	global_atomic_add_f32 v6, v134, s[8:9] offset:264          // 0000000082F0: DD348108 00088606
	global_atomic_add_f32 v6, v138, s[8:9] offset:520          // 0000000082F8: DD348208 00088A06
	global_atomic_add_f32 v6, v142, s[8:9] offset:776          // 000000008300: DD348308 00088E06
	s_mov_b64 exec, s[36:37]                                   // 000000008308: BEFE0124
	v_mov_b32_e32 v6, v57                                      // 00000000830C: 7E0C0339
	s_mov_b64 s[60:61], 0                                      // 000000008310: BEBC0180
	v_readlane_b32 s82, v3, 18                                 // 000000008314: D2890052 00012503
	s_and_b32 s82, s82, 0xffffff                               // 00000000831C: 8652FF52 00FFFFFF
	s_cmp_lt_u32 s82, s66                                      // 000000008324: BF0A4252
	s_cselect_b32 s20, s36, s60                                // 000000008328: 85143C24
	v_readlane_b32 s82, v3, 19                                 // 00000000832C: D2890052 00012703
	s_and_b32 s82, s82, 0xffffff                               // 000000008334: 8652FF52 00FFFFFF
	s_cmp_lt_u32 s82, s66                                      // 00000000833C: BF0A4252
	s_cselect_b32 s21, s36, s60                                // 000000008340: 85153C24
	s_mov_b64 exec, s[20:21]                                   // 000000008344: BEFE0114
	global_atomic_add_f32 v6, v131, s[8:9] offset:8            // 000000008348: DD348008 00088306
	global_atomic_add_f32 v6, v135, s[8:9] offset:264          // 000000008350: DD348108 00088706
	global_atomic_add_f32 v6, v139, s[8:9] offset:520          // 000000008358: DD348208 00088B06
	global_atomic_add_f32 v6, v143, s[8:9] offset:776          // 000000008360: DD348308 00088F06
	s_mov_b64 exec, s[36:37]                                   // 000000008368: BEFE0124
	ds_write_b64 v20, v[144:145]                               // 00000000836C: D89A0000 00009014
	ds_write_b64 v20, v[148:149] offset:8704                   // 000000008374: D89A2200 00009414
	ds_write_b64 v20, v[152:153] offset:17408                  // 00000000837C: D89A4400 00009814
	ds_write_b64 v20, v[156:157] offset:26112                  // 000000008384: D89A6600 00009C14
	ds_write_b64 v20, v[160:161] offset:34816                  // 00000000838C: D89A8800 0000A014
	ds_write_b64 v20, v[164:165] offset:2176                   // 000000008394: D89A0880 0000A414
	ds_write_b64 v20, v[168:169] offset:10880                  // 00000000839C: D89A2A80 0000A814
	ds_write_b64 v20, v[172:173] offset:19584                  // 0000000083A4: D89A4C80 0000AC14
	ds_write_b64 v20, v[176:177] offset:28288                  // 0000000083AC: D89A6E80 0000B014
	ds_write_b64 v20, v[180:181] offset:36992                  // 0000000083B4: D89A9080 0000B414
	ds_write_b64 v20, v[184:185] offset:4352                   // 0000000083BC: D89A1100 0000B814
	ds_write_b64 v20, v[188:189] offset:13056                  // 0000000083C4: D89A3300 0000BC14
	ds_write_b64 v20, v[192:193] offset:21760                  // 0000000083CC: D89A5500 0000C014
	ds_write_b64 v20, v[196:197] offset:30464                  // 0000000083D4: D89A7700 0000C414
	ds_write_b64 v20, v[200:201] offset:39168                  // 0000000083DC: D89A9900 0000C814
	ds_write_b64 v20, v[204:205] offset:6528                   // 0000000083E4: D89A1980 0000CC14
	ds_write_b64 v20, v[208:209] offset:15232                  // 0000000083EC: D89A3B80 0000D014
	ds_write_b64 v20, v[212:213] offset:23936                  // 0000000083F4: D89A5D80 0000D414
	ds_write_b64 v20, v[216:217] offset:32640                  // 0000000083FC: D89A7F80 0000D814
	ds_write_b64 v20, v[220:221] offset:41344                  // 000000008404: D89AA180 0000DC14
	s_waitcnt lgkmcnt(0)                                       // 00000000840C: BF8CC07F
	s_barrier                                                  // 000000008410: BF8A0000
	ds_read_b32 v144, v21                                      // 000000008414: D86C0000 90000015
	ds_read_b32 v145, v21 offset:64                            // 00000000841C: D86C0040 91000015
	ds_read_b32 v148, v21 offset:2176                          // 000000008424: D86C0880 94000015
	ds_read_b32 v149, v21 offset:2240                          // 00000000842C: D86C08C0 95000015
	ds_read_b32 v152, v21 offset:4352                          // 000000008434: D86C1100 98000015
	ds_read_b32 v153, v21 offset:4416                          // 00000000843C: D86C1140 99000015
	ds_read_b32 v156, v21 offset:6528                          // 000000008444: D86C1980 9C000015
	ds_read_b32 v157, v21 offset:6592                          // 00000000844C: D86C19C0 9D000015
	ds_read_b32 v160, v21 offset:8704                          // 000000008454: D86C2200 A0000015
	ds_read_b32 v161, v21 offset:8768                          // 00000000845C: D86C2240 A1000015
	ds_read_b32 v164, v21 offset:10880                         // 000000008464: D86C2A80 A4000015
	ds_read_b32 v165, v21 offset:10944                         // 00000000846C: D86C2AC0 A5000015
	ds_read_b32 v168, v21 offset:13056                         // 000000008474: D86C3300 A8000015
	ds_read_b32 v169, v21 offset:13120                         // 00000000847C: D86C3340 A9000015
	ds_read_b32 v172, v21 offset:15232                         // 000000008484: D86C3B80 AC000015
	ds_read_b32 v173, v21 offset:15296                         // 00000000848C: D86C3BC0 AD000015
	ds_read_b32 v176, v21 offset:17408                         // 000000008494: D86C4400 B0000015
	ds_read_b32 v177, v21 offset:17472                         // 00000000849C: D86C4440 B1000015
	ds_read_b32 v180, v21 offset:19584                         // 0000000084A4: D86C4C80 B4000015
	ds_read_b32 v181, v21 offset:19648                         // 0000000084AC: D86C4CC0 B5000015
	ds_read_b32 v184, v21 offset:21760                         // 0000000084B4: D86C5500 B8000015
	ds_read_b32 v185, v21 offset:21824                         // 0000000084BC: D86C5540 B9000015
	ds_read_b32 v188, v21 offset:23936                         // 0000000084C4: D86C5D80 BC000015
	ds_read_b32 v189, v21 offset:24000                         // 0000000084CC: D86C5DC0 BD000015
	ds_read_b32 v192, v21 offset:26112                         // 0000000084D4: D86C6600 C0000015
	ds_read_b32 v193, v21 offset:26176                         // 0000000084DC: D86C6640 C1000015
	ds_read_b32 v196, v21 offset:28288                         // 0000000084E4: D86C6E80 C4000015
	ds_read_b32 v197, v21 offset:28352                         // 0000000084EC: D86C6EC0 C5000015
	ds_read_b32 v200, v21 offset:30464                         // 0000000084F4: D86C7700 C8000015
	ds_read_b32 v201, v21 offset:30528                         // 0000000084FC: D86C7740 C9000015
	ds_read_b32 v204, v21 offset:32640                         // 000000008504: D86C7F80 CC000015
	ds_read_b32 v205, v21 offset:32704                         // 00000000850C: D86C7FC0 CD000015
	ds_read_b32 v208, v21 offset:34816                         // 000000008514: D86C8800 D0000015
	ds_read_b32 v209, v21 offset:34880                         // 00000000851C: D86C8840 D1000015
	ds_read_b32 v212, v21 offset:36992                         // 000000008524: D86C9080 D4000015
	ds_read_b32 v213, v21 offset:37056                         // 00000000852C: D86C90C0 D5000015
	ds_read_b32 v216, v21 offset:39168                         // 000000008534: D86C9900 D8000015
	ds_read_b32 v217, v21 offset:39232                         // 00000000853C: D86C9940 D9000015
	ds_read_b32 v220, v21 offset:41344                         // 000000008544: D86CA180 DC000015
	ds_read_b32 v221, v21 offset:41408                         // 00000000854C: D86CA1C0 DD000015
	s_mul_i32 s60, s65, 4                                      // 000000008554: 923C8441
	s_add_u32 s8, s60, s8                                      // 000000008558: 8008083C
	s_addc_u32 s9, 0, s9                                       // 00000000855C: 82090980
	s_waitcnt lgkmcnt(0)                                       // 000000008560: BF8CC07F
	v_mov_b32_e32 v7, 0                                        // 000000008564: 7E0E0280
	s_mov_b64 exec, s[36:37]                                   // 000000008568: BEFE0124
	v_mov_b32_e32 v6, v48                                      // 00000000856C: 7E0C0330
	s_mov_b64 s[60:61], 0                                      // 000000008570: BEBC0180
	v_readlane_b32 s82, v3, 0                                  // 000000008574: D2890052 00010103
	s_and_b32 s82, s82, 0xffffff                               // 00000000857C: 8652FF52 00FFFFFF
	s_cmp_lt_u32 s82, s66                                      // 000000008584: BF0A4252
	s_cselect_b32 s20, s36, s60                                // 000000008588: 85143C24
	v_readlane_b32 s82, v3, 1                                  // 00000000858C: D2890052 00010303
	s_and_b32 s82, s82, 0xffffff                               // 000000008594: 8652FF52 00FFFFFF
	s_cmp_lt_u32 s82, s66                                      // 00000000859C: BF0A4252
	s_cselect_b32 s21, s36, s60                                // 0000000085A0: 85153C24
	s_mov_b64 exec, s[20:21]                                   // 0000000085A4: BEFE0114
	global_atomic_add_f32 v6, v144, s[8:9]                     // 0000000085A8: DD348000 00089006
	global_atomic_add_f32 v6, v148, s[8:9] offset:256          // 0000000085B0: DD348100 00089406
	global_atomic_add_f32 v6, v152, s[8:9] offset:512          // 0000000085B8: DD348200 00089806
	global_atomic_add_f32 v6, v156, s[8:9] offset:768          // 0000000085C0: DD348300 00089C06
	s_mov_b64 exec, s[36:37]                                   // 0000000085C8: BEFE0124
	v_mov_b32_e32 v6, v49                                      // 0000000085CC: 7E0C0331
	s_mov_b64 s[60:61], 0                                      // 0000000085D0: BEBC0180
	v_readlane_b32 s82, v3, 2                                  // 0000000085D4: D2890052 00010503
	s_and_b32 s82, s82, 0xffffff                               // 0000000085DC: 8652FF52 00FFFFFF
	s_cmp_lt_u32 s82, s66                                      // 0000000085E4: BF0A4252
	s_cselect_b32 s20, s36, s60                                // 0000000085E8: 85143C24
	v_readlane_b32 s82, v3, 3                                  // 0000000085EC: D2890052 00010703
	s_and_b32 s82, s82, 0xffffff                               // 0000000085F4: 8652FF52 00FFFFFF
	s_cmp_lt_u32 s82, s66                                      // 0000000085FC: BF0A4252
	s_cselect_b32 s21, s36, s60                                // 000000008600: 85153C24
	s_mov_b64 exec, s[20:21]                                   // 000000008604: BEFE0114
	global_atomic_add_f32 v6, v145, s[8:9]                     // 000000008608: DD348000 00089106
	global_atomic_add_f32 v6, v149, s[8:9] offset:256          // 000000008610: DD348100 00089506
	global_atomic_add_f32 v6, v153, s[8:9] offset:512          // 000000008618: DD348200 00089906
	global_atomic_add_f32 v6, v157, s[8:9] offset:768          // 000000008620: DD348300 00089D06
	s_mov_b64 exec, s[36:37]                                   // 000000008628: BEFE0124
	v_mov_b32_e32 v6, v50                                      // 00000000862C: 7E0C0332
	s_mov_b64 s[60:61], 0                                      // 000000008630: BEBC0180
	v_readlane_b32 s82, v3, 4                                  // 000000008634: D2890052 00010903
	s_and_b32 s82, s82, 0xffffff                               // 00000000863C: 8652FF52 00FFFFFF
	s_cmp_lt_u32 s82, s66                                      // 000000008644: BF0A4252
	s_cselect_b32 s20, s36, s60                                // 000000008648: 85143C24
	v_readlane_b32 s82, v3, 5                                  // 00000000864C: D2890052 00010B03
	s_and_b32 s82, s82, 0xffffff                               // 000000008654: 8652FF52 00FFFFFF
	s_cmp_lt_u32 s82, s66                                      // 00000000865C: BF0A4252
	s_cselect_b32 s21, s36, s60                                // 000000008660: 85153C24
	s_mov_b64 exec, s[20:21]                                   // 000000008664: BEFE0114
	global_atomic_add_f32 v6, v160, s[8:9]                     // 000000008668: DD348000 0008A006
	global_atomic_add_f32 v6, v164, s[8:9] offset:256          // 000000008670: DD348100 0008A406
	global_atomic_add_f32 v6, v168, s[8:9] offset:512          // 000000008678: DD348200 0008A806
	global_atomic_add_f32 v6, v172, s[8:9] offset:768          // 000000008680: DD348300 0008AC06
	s_mov_b64 exec, s[36:37]                                   // 000000008688: BEFE0124
	v_mov_b32_e32 v6, v51                                      // 00000000868C: 7E0C0333
	s_mov_b64 s[60:61], 0                                      // 000000008690: BEBC0180
	v_readlane_b32 s82, v3, 6                                  // 000000008694: D2890052 00010D03
	s_and_b32 s82, s82, 0xffffff                               // 00000000869C: 8652FF52 00FFFFFF
	s_cmp_lt_u32 s82, s66                                      // 0000000086A4: BF0A4252
	s_cselect_b32 s20, s36, s60                                // 0000000086A8: 85143C24
	v_readlane_b32 s82, v3, 7                                  // 0000000086AC: D2890052 00010F03
	s_and_b32 s82, s82, 0xffffff                               // 0000000086B4: 8652FF52 00FFFFFF
	s_cmp_lt_u32 s82, s66                                      // 0000000086BC: BF0A4252
	s_cselect_b32 s21, s36, s60                                // 0000000086C0: 85153C24
	s_mov_b64 exec, s[20:21]                                   // 0000000086C4: BEFE0114
	global_atomic_add_f32 v6, v161, s[8:9]                     // 0000000086C8: DD348000 0008A106
	global_atomic_add_f32 v6, v165, s[8:9] offset:256          // 0000000086D0: DD348100 0008A506
	global_atomic_add_f32 v6, v169, s[8:9] offset:512          // 0000000086D8: DD348200 0008A906
	global_atomic_add_f32 v6, v173, s[8:9] offset:768          // 0000000086E0: DD348300 0008AD06
	s_mov_b64 exec, s[36:37]                                   // 0000000086E8: BEFE0124
	v_mov_b32_e32 v6, v52                                      // 0000000086EC: 7E0C0334
	s_mov_b64 s[60:61], 0                                      // 0000000086F0: BEBC0180
	v_readlane_b32 s82, v3, 8                                  // 0000000086F4: D2890052 00011103
	s_and_b32 s82, s82, 0xffffff                               // 0000000086FC: 8652FF52 00FFFFFF
	s_cmp_lt_u32 s82, s66                                      // 000000008704: BF0A4252
	s_cselect_b32 s20, s36, s60                                // 000000008708: 85143C24
	v_readlane_b32 s82, v3, 9                                  // 00000000870C: D2890052 00011303
	s_and_b32 s82, s82, 0xffffff                               // 000000008714: 8652FF52 00FFFFFF
	s_cmp_lt_u32 s82, s66                                      // 00000000871C: BF0A4252
	s_cselect_b32 s21, s36, s60                                // 000000008720: 85153C24
	s_mov_b64 exec, s[20:21]                                   // 000000008724: BEFE0114
	global_atomic_add_f32 v6, v176, s[8:9]                     // 000000008728: DD348000 0008B006
	global_atomic_add_f32 v6, v180, s[8:9] offset:256          // 000000008730: DD348100 0008B406
	global_atomic_add_f32 v6, v184, s[8:9] offset:512          // 000000008738: DD348200 0008B806
	global_atomic_add_f32 v6, v188, s[8:9] offset:768          // 000000008740: DD348300 0008BC06
	s_mov_b64 exec, s[36:37]                                   // 000000008748: BEFE0124
	v_mov_b32_e32 v6, v53                                      // 00000000874C: 7E0C0335
	s_mov_b64 s[60:61], 0                                      // 000000008750: BEBC0180
	v_readlane_b32 s82, v3, 10                                 // 000000008754: D2890052 00011503
	s_and_b32 s82, s82, 0xffffff                               // 00000000875C: 8652FF52 00FFFFFF
	s_cmp_lt_u32 s82, s66                                      // 000000008764: BF0A4252
	s_cselect_b32 s20, s36, s60                                // 000000008768: 85143C24
	v_readlane_b32 s82, v3, 11                                 // 00000000876C: D2890052 00011703
	s_and_b32 s82, s82, 0xffffff                               // 000000008774: 8652FF52 00FFFFFF
	s_cmp_lt_u32 s82, s66                                      // 00000000877C: BF0A4252
	s_cselect_b32 s21, s36, s60                                // 000000008780: 85153C24
	s_mov_b64 exec, s[20:21]                                   // 000000008784: BEFE0114
	global_atomic_add_f32 v6, v177, s[8:9]                     // 000000008788: DD348000 0008B106
	global_atomic_add_f32 v6, v181, s[8:9] offset:256          // 000000008790: DD348100 0008B506
	global_atomic_add_f32 v6, v185, s[8:9] offset:512          // 000000008798: DD348200 0008B906
	global_atomic_add_f32 v6, v189, s[8:9] offset:768          // 0000000087A0: DD348300 0008BD06
	s_mov_b64 exec, s[36:37]                                   // 0000000087A8: BEFE0124
	v_mov_b32_e32 v6, v54                                      // 0000000087AC: 7E0C0336
	s_mov_b64 s[60:61], 0                                      // 0000000087B0: BEBC0180
	v_readlane_b32 s82, v3, 12                                 // 0000000087B4: D2890052 00011903
	s_and_b32 s82, s82, 0xffffff                               // 0000000087BC: 8652FF52 00FFFFFF
	s_cmp_lt_u32 s82, s66                                      // 0000000087C4: BF0A4252
	s_cselect_b32 s20, s36, s60                                // 0000000087C8: 85143C24
	v_readlane_b32 s82, v3, 13                                 // 0000000087CC: D2890052 00011B03
	s_and_b32 s82, s82, 0xffffff                               // 0000000087D4: 8652FF52 00FFFFFF
	s_cmp_lt_u32 s82, s66                                      // 0000000087DC: BF0A4252
	s_cselect_b32 s21, s36, s60                                // 0000000087E0: 85153C24
	s_mov_b64 exec, s[20:21]                                   // 0000000087E4: BEFE0114
	global_atomic_add_f32 v6, v192, s[8:9]                     // 0000000087E8: DD348000 0008C006
	global_atomic_add_f32 v6, v196, s[8:9] offset:256          // 0000000087F0: DD348100 0008C406
	global_atomic_add_f32 v6, v200, s[8:9] offset:512          // 0000000087F8: DD348200 0008C806
	global_atomic_add_f32 v6, v204, s[8:9] offset:768          // 000000008800: DD348300 0008CC06
	s_mov_b64 exec, s[36:37]                                   // 000000008808: BEFE0124
	v_mov_b32_e32 v6, v55                                      // 00000000880C: 7E0C0337
	s_mov_b64 s[60:61], 0                                      // 000000008810: BEBC0180
	v_readlane_b32 s82, v3, 14                                 // 000000008814: D2890052 00011D03
	s_and_b32 s82, s82, 0xffffff                               // 00000000881C: 8652FF52 00FFFFFF
	s_cmp_lt_u32 s82, s66                                      // 000000008824: BF0A4252
	s_cselect_b32 s20, s36, s60                                // 000000008828: 85143C24
	v_readlane_b32 s82, v3, 15                                 // 00000000882C: D2890052 00011F03
	s_and_b32 s82, s82, 0xffffff                               // 000000008834: 8652FF52 00FFFFFF
	s_cmp_lt_u32 s82, s66                                      // 00000000883C: BF0A4252
	s_cselect_b32 s21, s36, s60                                // 000000008840: 85153C24
	s_mov_b64 exec, s[20:21]                                   // 000000008844: BEFE0114
	global_atomic_add_f32 v6, v193, s[8:9]                     // 000000008848: DD348000 0008C106
	global_atomic_add_f32 v6, v197, s[8:9] offset:256          // 000000008850: DD348100 0008C506
	global_atomic_add_f32 v6, v201, s[8:9] offset:512          // 000000008858: DD348200 0008C906
	global_atomic_add_f32 v6, v205, s[8:9] offset:768          // 000000008860: DD348300 0008CD06
	s_mov_b64 exec, s[36:37]                                   // 000000008868: BEFE0124
	v_mov_b32_e32 v6, v56                                      // 00000000886C: 7E0C0338
	s_mov_b64 s[60:61], 0                                      // 000000008870: BEBC0180
	v_readlane_b32 s82, v3, 16                                 // 000000008874: D2890052 00012103
	s_and_b32 s82, s82, 0xffffff                               // 00000000887C: 8652FF52 00FFFFFF
	s_cmp_lt_u32 s82, s66                                      // 000000008884: BF0A4252
	s_cselect_b32 s20, s36, s60                                // 000000008888: 85143C24
	v_readlane_b32 s82, v3, 17                                 // 00000000888C: D2890052 00012303
	s_and_b32 s82, s82, 0xffffff                               // 000000008894: 8652FF52 00FFFFFF
	s_cmp_lt_u32 s82, s66                                      // 00000000889C: BF0A4252
	s_cselect_b32 s21, s36, s60                                // 0000000088A0: 85153C24
	s_mov_b64 exec, s[20:21]                                   // 0000000088A4: BEFE0114
	global_atomic_add_f32 v6, v208, s[8:9]                     // 0000000088A8: DD348000 0008D006
	global_atomic_add_f32 v6, v212, s[8:9] offset:256          // 0000000088B0: DD348100 0008D406
	global_atomic_add_f32 v6, v216, s[8:9] offset:512          // 0000000088B8: DD348200 0008D806
	global_atomic_add_f32 v6, v220, s[8:9] offset:768          // 0000000088C0: DD348300 0008DC06
	s_mov_b64 exec, s[36:37]                                   // 0000000088C8: BEFE0124
	v_mov_b32_e32 v6, v57                                      // 0000000088CC: 7E0C0339
	s_mov_b64 s[60:61], 0                                      // 0000000088D0: BEBC0180
	v_readlane_b32 s82, v3, 18                                 // 0000000088D4: D2890052 00012503
	s_and_b32 s82, s82, 0xffffff                               // 0000000088DC: 8652FF52 00FFFFFF
	s_cmp_lt_u32 s82, s66                                      // 0000000088E4: BF0A4252
	s_cselect_b32 s20, s36, s60                                // 0000000088E8: 85143C24
	v_readlane_b32 s82, v3, 19                                 // 0000000088EC: D2890052 00012703
	s_and_b32 s82, s82, 0xffffff                               // 0000000088F4: 8652FF52 00FFFFFF
	s_cmp_lt_u32 s82, s66                                      // 0000000088FC: BF0A4252
	s_cselect_b32 s21, s36, s60                                // 000000008900: 85153C24
	s_mov_b64 exec, s[20:21]                                   // 000000008904: BEFE0114
	global_atomic_add_f32 v6, v209, s[8:9]                     // 000000008908: DD348000 0008D106
	global_atomic_add_f32 v6, v213, s[8:9] offset:256          // 000000008910: DD348100 0008D506
	global_atomic_add_f32 v6, v217, s[8:9] offset:512          // 000000008918: DD348200 0008D906
	global_atomic_add_f32 v6, v221, s[8:9] offset:768          // 000000008920: DD348300 0008DD06
	s_mov_b64 exec, s[36:37]                                   // 000000008928: BEFE0124
	ds_write_b64 v20, v[146:147]                               // 00000000892C: D89A0000 00009214
	ds_write_b64 v20, v[150:151] offset:8704                   // 000000008934: D89A2200 00009614
	ds_write_b64 v20, v[154:155] offset:17408                  // 00000000893C: D89A4400 00009A14
	ds_write_b64 v20, v[158:159] offset:26112                  // 000000008944: D89A6600 00009E14
	ds_write_b64 v20, v[162:163] offset:34816                  // 00000000894C: D89A8800 0000A214
	ds_write_b64 v20, v[166:167] offset:2176                   // 000000008954: D89A0880 0000A614
	ds_write_b64 v20, v[170:171] offset:10880                  // 00000000895C: D89A2A80 0000AA14
	ds_write_b64 v20, v[174:175] offset:19584                  // 000000008964: D89A4C80 0000AE14
	ds_write_b64 v20, v[178:179] offset:28288                  // 00000000896C: D89A6E80 0000B214
	ds_write_b64 v20, v[182:183] offset:36992                  // 000000008974: D89A9080 0000B614
	ds_write_b64 v20, v[186:187] offset:4352                   // 00000000897C: D89A1100 0000BA14
	ds_write_b64 v20, v[190:191] offset:13056                  // 000000008984: D89A3300 0000BE14
	ds_write_b64 v20, v[194:195] offset:21760                  // 00000000898C: D89A5500 0000C214
	ds_write_b64 v20, v[198:199] offset:30464                  // 000000008994: D89A7700 0000C614
	ds_write_b64 v20, v[202:203] offset:39168                  // 00000000899C: D89A9900 0000CA14
	ds_write_b64 v20, v[206:207] offset:6528                   // 0000000089A4: D89A1980 0000CE14
	ds_write_b64 v20, v[210:211] offset:15232                  // 0000000089AC: D89A3B80 0000D214
	ds_write_b64 v20, v[214:215] offset:23936                  // 0000000089B4: D89A5D80 0000D614
	ds_write_b64 v20, v[218:219] offset:32640                  // 0000000089BC: D89A7F80 0000DA14
	ds_write_b64 v20, v[222:223] offset:41344                  // 0000000089C4: D89AA180 0000DE14
	s_waitcnt lgkmcnt(0)                                       // 0000000089CC: BF8CC07F
	s_barrier                                                  // 0000000089D0: BF8A0000
	ds_read_b32 v146, v21                                      // 0000000089D4: D86C0000 92000015
	ds_read_b32 v147, v21 offset:64                            // 0000000089DC: D86C0040 93000015
	ds_read_b32 v150, v21 offset:2176                          // 0000000089E4: D86C0880 96000015
	ds_read_b32 v151, v21 offset:2240                          // 0000000089EC: D86C08C0 97000015
	ds_read_b32 v154, v21 offset:4352                          // 0000000089F4: D86C1100 9A000015
	ds_read_b32 v155, v21 offset:4416                          // 0000000089FC: D86C1140 9B000015
	ds_read_b32 v158, v21 offset:6528                          // 000000008A04: D86C1980 9E000015
	ds_read_b32 v159, v21 offset:6592                          // 000000008A0C: D86C19C0 9F000015
	ds_read_b32 v162, v21 offset:8704                          // 000000008A14: D86C2200 A2000015
	ds_read_b32 v163, v21 offset:8768                          // 000000008A1C: D86C2240 A3000015
	ds_read_b32 v166, v21 offset:10880                         // 000000008A24: D86C2A80 A6000015
	ds_read_b32 v167, v21 offset:10944                         // 000000008A2C: D86C2AC0 A7000015
	ds_read_b32 v170, v21 offset:13056                         // 000000008A34: D86C3300 AA000015
	ds_read_b32 v171, v21 offset:13120                         // 000000008A3C: D86C3340 AB000015
	ds_read_b32 v174, v21 offset:15232                         // 000000008A44: D86C3B80 AE000015
	ds_read_b32 v175, v21 offset:15296                         // 000000008A4C: D86C3BC0 AF000015
	ds_read_b32 v178, v21 offset:17408                         // 000000008A54: D86C4400 B2000015
	ds_read_b32 v179, v21 offset:17472                         // 000000008A5C: D86C4440 B3000015
	ds_read_b32 v182, v21 offset:19584                         // 000000008A64: D86C4C80 B6000015
	ds_read_b32 v183, v21 offset:19648                         // 000000008A6C: D86C4CC0 B7000015
	ds_read_b32 v186, v21 offset:21760                         // 000000008A74: D86C5500 BA000015
	ds_read_b32 v187, v21 offset:21824                         // 000000008A7C: D86C5540 BB000015
	ds_read_b32 v190, v21 offset:23936                         // 000000008A84: D86C5D80 BE000015
	ds_read_b32 v191, v21 offset:24000                         // 000000008A8C: D86C5DC0 BF000015
	ds_read_b32 v194, v21 offset:26112                         // 000000008A94: D86C6600 C2000015
	ds_read_b32 v195, v21 offset:26176                         // 000000008A9C: D86C6640 C3000015
	ds_read_b32 v198, v21 offset:28288                         // 000000008AA4: D86C6E80 C6000015
	ds_read_b32 v199, v21 offset:28352                         // 000000008AAC: D86C6EC0 C7000015
	ds_read_b32 v202, v21 offset:30464                         // 000000008AB4: D86C7700 CA000015
	ds_read_b32 v203, v21 offset:30528                         // 000000008ABC: D86C7740 CB000015
	ds_read_b32 v206, v21 offset:32640                         // 000000008AC4: D86C7F80 CE000015
	ds_read_b32 v207, v21 offset:32704                         // 000000008ACC: D86C7FC0 CF000015
	ds_read_b32 v210, v21 offset:34816                         // 000000008AD4: D86C8800 D2000015
	ds_read_b32 v211, v21 offset:34880                         // 000000008ADC: D86C8840 D3000015
	ds_read_b32 v214, v21 offset:36992                         // 000000008AE4: D86C9080 D6000015
	ds_read_b32 v215, v21 offset:37056                         // 000000008AEC: D86C90C0 D7000015
	ds_read_b32 v218, v21 offset:39168                         // 000000008AF4: D86C9900 DA000015
	ds_read_b32 v219, v21 offset:39232                         // 000000008AFC: D86C9940 DB000015
	ds_read_b32 v222, v21 offset:41344                         // 000000008B04: D86CA180 DE000015
	ds_read_b32 v223, v21 offset:41408                         // 000000008B0C: D86CA1C0 DF000015
	s_waitcnt lgkmcnt(0)                                       // 000000008B14: BF8CC07F
	v_mov_b32_e32 v7, 0                                        // 000000008B18: 7E0E0280
	s_mov_b64 exec, s[36:37]                                   // 000000008B1C: BEFE0124
	v_mov_b32_e32 v6, v48                                      // 000000008B20: 7E0C0330
	s_mov_b64 s[60:61], 0                                      // 000000008B24: BEBC0180
	v_readlane_b32 s82, v3, 0                                  // 000000008B28: D2890052 00010103
	s_and_b32 s82, s82, 0xffffff                               // 000000008B30: 8652FF52 00FFFFFF
	s_cmp_lt_u32 s82, s66                                      // 000000008B38: BF0A4252
	s_cselect_b32 s20, s36, s60                                // 000000008B3C: 85143C24
	v_readlane_b32 s82, v3, 1                                  // 000000008B40: D2890052 00010303
	s_and_b32 s82, s82, 0xffffff                               // 000000008B48: 8652FF52 00FFFFFF
	s_cmp_lt_u32 s82, s66                                      // 000000008B50: BF0A4252
	s_cselect_b32 s21, s36, s60                                // 000000008B54: 85153C24
	s_mov_b64 exec, s[20:21]                                   // 000000008B58: BEFE0114
	global_atomic_add_f32 v6, v146, s[8:9] offset:8            // 000000008B5C: DD348008 00089206
	global_atomic_add_f32 v6, v150, s[8:9] offset:264          // 000000008B64: DD348108 00089606
	global_atomic_add_f32 v6, v154, s[8:9] offset:520          // 000000008B6C: DD348208 00089A06
	global_atomic_add_f32 v6, v158, s[8:9] offset:776          // 000000008B74: DD348308 00089E06
	s_mov_b64 exec, s[36:37]                                   // 000000008B7C: BEFE0124
	v_mov_b32_e32 v6, v49                                      // 000000008B80: 7E0C0331
	s_mov_b64 s[60:61], 0                                      // 000000008B84: BEBC0180
	v_readlane_b32 s82, v3, 2                                  // 000000008B88: D2890052 00010503
	s_and_b32 s82, s82, 0xffffff                               // 000000008B90: 8652FF52 00FFFFFF
	s_cmp_lt_u32 s82, s66                                      // 000000008B98: BF0A4252
	s_cselect_b32 s20, s36, s60                                // 000000008B9C: 85143C24
	v_readlane_b32 s82, v3, 3                                  // 000000008BA0: D2890052 00010703
	s_and_b32 s82, s82, 0xffffff                               // 000000008BA8: 8652FF52 00FFFFFF
	s_cmp_lt_u32 s82, s66                                      // 000000008BB0: BF0A4252
	s_cselect_b32 s21, s36, s60                                // 000000008BB4: 85153C24
	s_mov_b64 exec, s[20:21]                                   // 000000008BB8: BEFE0114
	global_atomic_add_f32 v6, v147, s[8:9] offset:8            // 000000008BBC: DD348008 00089306
	global_atomic_add_f32 v6, v151, s[8:9] offset:264          // 000000008BC4: DD348108 00089706
	global_atomic_add_f32 v6, v155, s[8:9] offset:520          // 000000008BCC: DD348208 00089B06
	global_atomic_add_f32 v6, v159, s[8:9] offset:776          // 000000008BD4: DD348308 00089F06
	s_mov_b64 exec, s[36:37]                                   // 000000008BDC: BEFE0124
	v_mov_b32_e32 v6, v50                                      // 000000008BE0: 7E0C0332
	s_mov_b64 s[60:61], 0                                      // 000000008BE4: BEBC0180
	v_readlane_b32 s82, v3, 4                                  // 000000008BE8: D2890052 00010903
	s_and_b32 s82, s82, 0xffffff                               // 000000008BF0: 8652FF52 00FFFFFF
	s_cmp_lt_u32 s82, s66                                      // 000000008BF8: BF0A4252
	s_cselect_b32 s20, s36, s60                                // 000000008BFC: 85143C24
	v_readlane_b32 s82, v3, 5                                  // 000000008C00: D2890052 00010B03
	s_and_b32 s82, s82, 0xffffff                               // 000000008C08: 8652FF52 00FFFFFF
	s_cmp_lt_u32 s82, s66                                      // 000000008C10: BF0A4252
	s_cselect_b32 s21, s36, s60                                // 000000008C14: 85153C24
	s_mov_b64 exec, s[20:21]                                   // 000000008C18: BEFE0114
	global_atomic_add_f32 v6, v162, s[8:9] offset:8            // 000000008C1C: DD348008 0008A206
	global_atomic_add_f32 v6, v166, s[8:9] offset:264          // 000000008C24: DD348108 0008A606
	global_atomic_add_f32 v6, v170, s[8:9] offset:520          // 000000008C2C: DD348208 0008AA06
	global_atomic_add_f32 v6, v174, s[8:9] offset:776          // 000000008C34: DD348308 0008AE06
	s_mov_b64 exec, s[36:37]                                   // 000000008C3C: BEFE0124
	v_mov_b32_e32 v6, v51                                      // 000000008C40: 7E0C0333
	s_mov_b64 s[60:61], 0                                      // 000000008C44: BEBC0180
	v_readlane_b32 s82, v3, 6                                  // 000000008C48: D2890052 00010D03
	s_and_b32 s82, s82, 0xffffff                               // 000000008C50: 8652FF52 00FFFFFF
	s_cmp_lt_u32 s82, s66                                      // 000000008C58: BF0A4252
	s_cselect_b32 s20, s36, s60                                // 000000008C5C: 85143C24
	v_readlane_b32 s82, v3, 7                                  // 000000008C60: D2890052 00010F03
	s_and_b32 s82, s82, 0xffffff                               // 000000008C68: 8652FF52 00FFFFFF
	s_cmp_lt_u32 s82, s66                                      // 000000008C70: BF0A4252
	s_cselect_b32 s21, s36, s60                                // 000000008C74: 85153C24
	s_mov_b64 exec, s[20:21]                                   // 000000008C78: BEFE0114
	global_atomic_add_f32 v6, v163, s[8:9] offset:8            // 000000008C7C: DD348008 0008A306
	global_atomic_add_f32 v6, v167, s[8:9] offset:264          // 000000008C84: DD348108 0008A706
	global_atomic_add_f32 v6, v171, s[8:9] offset:520          // 000000008C8C: DD348208 0008AB06
	global_atomic_add_f32 v6, v175, s[8:9] offset:776          // 000000008C94: DD348308 0008AF06
	s_mov_b64 exec, s[36:37]                                   // 000000008C9C: BEFE0124
	v_mov_b32_e32 v6, v52                                      // 000000008CA0: 7E0C0334
	s_mov_b64 s[60:61], 0                                      // 000000008CA4: BEBC0180
	v_readlane_b32 s82, v3, 8                                  // 000000008CA8: D2890052 00011103
	s_and_b32 s82, s82, 0xffffff                               // 000000008CB0: 8652FF52 00FFFFFF
	s_cmp_lt_u32 s82, s66                                      // 000000008CB8: BF0A4252
	s_cselect_b32 s20, s36, s60                                // 000000008CBC: 85143C24
	v_readlane_b32 s82, v3, 9                                  // 000000008CC0: D2890052 00011303
	s_and_b32 s82, s82, 0xffffff                               // 000000008CC8: 8652FF52 00FFFFFF
	s_cmp_lt_u32 s82, s66                                      // 000000008CD0: BF0A4252
	s_cselect_b32 s21, s36, s60                                // 000000008CD4: 85153C24
	s_mov_b64 exec, s[20:21]                                   // 000000008CD8: BEFE0114
	global_atomic_add_f32 v6, v178, s[8:9] offset:8            // 000000008CDC: DD348008 0008B206
	global_atomic_add_f32 v6, v182, s[8:9] offset:264          // 000000008CE4: DD348108 0008B606
	global_atomic_add_f32 v6, v186, s[8:9] offset:520          // 000000008CEC: DD348208 0008BA06
	global_atomic_add_f32 v6, v190, s[8:9] offset:776          // 000000008CF4: DD348308 0008BE06
	s_mov_b64 exec, s[36:37]                                   // 000000008CFC: BEFE0124
	v_mov_b32_e32 v6, v53                                      // 000000008D00: 7E0C0335
	s_mov_b64 s[60:61], 0                                      // 000000008D04: BEBC0180
	v_readlane_b32 s82, v3, 10                                 // 000000008D08: D2890052 00011503
	s_and_b32 s82, s82, 0xffffff                               // 000000008D10: 8652FF52 00FFFFFF
	s_cmp_lt_u32 s82, s66                                      // 000000008D18: BF0A4252
	s_cselect_b32 s20, s36, s60                                // 000000008D1C: 85143C24
	v_readlane_b32 s82, v3, 11                                 // 000000008D20: D2890052 00011703
	s_and_b32 s82, s82, 0xffffff                               // 000000008D28: 8652FF52 00FFFFFF
	s_cmp_lt_u32 s82, s66                                      // 000000008D30: BF0A4252
	s_cselect_b32 s21, s36, s60                                // 000000008D34: 85153C24
	s_mov_b64 exec, s[20:21]                                   // 000000008D38: BEFE0114
	global_atomic_add_f32 v6, v179, s[8:9] offset:8            // 000000008D3C: DD348008 0008B306
	global_atomic_add_f32 v6, v183, s[8:9] offset:264          // 000000008D44: DD348108 0008B706
	global_atomic_add_f32 v6, v187, s[8:9] offset:520          // 000000008D4C: DD348208 0008BB06
	global_atomic_add_f32 v6, v191, s[8:9] offset:776          // 000000008D54: DD348308 0008BF06
	s_mov_b64 exec, s[36:37]                                   // 000000008D5C: BEFE0124
	v_mov_b32_e32 v6, v54                                      // 000000008D60: 7E0C0336
	s_mov_b64 s[60:61], 0                                      // 000000008D64: BEBC0180
	v_readlane_b32 s82, v3, 12                                 // 000000008D68: D2890052 00011903
	s_and_b32 s82, s82, 0xffffff                               // 000000008D70: 8652FF52 00FFFFFF
	s_cmp_lt_u32 s82, s66                                      // 000000008D78: BF0A4252
	s_cselect_b32 s20, s36, s60                                // 000000008D7C: 85143C24
	v_readlane_b32 s82, v3, 13                                 // 000000008D80: D2890052 00011B03
	s_and_b32 s82, s82, 0xffffff                               // 000000008D88: 8652FF52 00FFFFFF
	s_cmp_lt_u32 s82, s66                                      // 000000008D90: BF0A4252
	s_cselect_b32 s21, s36, s60                                // 000000008D94: 85153C24
	s_mov_b64 exec, s[20:21]                                   // 000000008D98: BEFE0114
	global_atomic_add_f32 v6, v194, s[8:9] offset:8            // 000000008D9C: DD348008 0008C206
	global_atomic_add_f32 v6, v198, s[8:9] offset:264          // 000000008DA4: DD348108 0008C606
	global_atomic_add_f32 v6, v202, s[8:9] offset:520          // 000000008DAC: DD348208 0008CA06
	global_atomic_add_f32 v6, v206, s[8:9] offset:776          // 000000008DB4: DD348308 0008CE06
	s_mov_b64 exec, s[36:37]                                   // 000000008DBC: BEFE0124
	v_mov_b32_e32 v6, v55                                      // 000000008DC0: 7E0C0337
	s_mov_b64 s[60:61], 0                                      // 000000008DC4: BEBC0180
	v_readlane_b32 s82, v3, 14                                 // 000000008DC8: D2890052 00011D03
	s_and_b32 s82, s82, 0xffffff                               // 000000008DD0: 8652FF52 00FFFFFF
	s_cmp_lt_u32 s82, s66                                      // 000000008DD8: BF0A4252
	s_cselect_b32 s20, s36, s60                                // 000000008DDC: 85143C24
	v_readlane_b32 s82, v3, 15                                 // 000000008DE0: D2890052 00011F03
	s_and_b32 s82, s82, 0xffffff                               // 000000008DE8: 8652FF52 00FFFFFF
	s_cmp_lt_u32 s82, s66                                      // 000000008DF0: BF0A4252
	s_cselect_b32 s21, s36, s60                                // 000000008DF4: 85153C24
	s_mov_b64 exec, s[20:21]                                   // 000000008DF8: BEFE0114
	global_atomic_add_f32 v6, v195, s[8:9] offset:8            // 000000008DFC: DD348008 0008C306
	global_atomic_add_f32 v6, v199, s[8:9] offset:264          // 000000008E04: DD348108 0008C706
	global_atomic_add_f32 v6, v203, s[8:9] offset:520          // 000000008E0C: DD348208 0008CB06
	global_atomic_add_f32 v6, v207, s[8:9] offset:776          // 000000008E14: DD348308 0008CF06
	s_mov_b64 exec, s[36:37]                                   // 000000008E1C: BEFE0124
	v_mov_b32_e32 v6, v56                                      // 000000008E20: 7E0C0338
	s_mov_b64 s[60:61], 0                                      // 000000008E24: BEBC0180
	v_readlane_b32 s82, v3, 16                                 // 000000008E28: D2890052 00012103
	s_and_b32 s82, s82, 0xffffff                               // 000000008E30: 8652FF52 00FFFFFF
	s_cmp_lt_u32 s82, s66                                      // 000000008E38: BF0A4252
	s_cselect_b32 s20, s36, s60                                // 000000008E3C: 85143C24
	v_readlane_b32 s82, v3, 17                                 // 000000008E40: D2890052 00012303
	s_and_b32 s82, s82, 0xffffff                               // 000000008E48: 8652FF52 00FFFFFF
	s_cmp_lt_u32 s82, s66                                      // 000000008E50: BF0A4252
	s_cselect_b32 s21, s36, s60                                // 000000008E54: 85153C24
	s_mov_b64 exec, s[20:21]                                   // 000000008E58: BEFE0114
	global_atomic_add_f32 v6, v210, s[8:9] offset:8            // 000000008E5C: DD348008 0008D206
	global_atomic_add_f32 v6, v214, s[8:9] offset:264          // 000000008E64: DD348108 0008D606
	global_atomic_add_f32 v6, v218, s[8:9] offset:520          // 000000008E6C: DD348208 0008DA06
	global_atomic_add_f32 v6, v222, s[8:9] offset:776          // 000000008E74: DD348308 0008DE06
	s_mov_b64 exec, s[36:37]                                   // 000000008E7C: BEFE0124
	v_mov_b32_e32 v6, v57                                      // 000000008E80: 7E0C0339
	s_mov_b64 s[60:61], 0                                      // 000000008E84: BEBC0180
	v_readlane_b32 s82, v3, 18                                 // 000000008E88: D2890052 00012503
	s_and_b32 s82, s82, 0xffffff                               // 000000008E90: 8652FF52 00FFFFFF
	s_cmp_lt_u32 s82, s66                                      // 000000008E98: BF0A4252
	s_cselect_b32 s20, s36, s60                                // 000000008E9C: 85143C24
	v_readlane_b32 s82, v3, 19                                 // 000000008EA0: D2890052 00012703
	s_and_b32 s82, s82, 0xffffff                               // 000000008EA8: 8652FF52 00FFFFFF
	s_cmp_lt_u32 s82, s66                                      // 000000008EB0: BF0A4252
	s_cselect_b32 s21, s36, s60                                // 000000008EB4: 85153C24
	s_mov_b64 exec, s[20:21]                                   // 000000008EB8: BEFE0114
	global_atomic_add_f32 v6, v211, s[8:9] offset:8            // 000000008EBC: DD348008 0008D306
	global_atomic_add_f32 v6, v215, s[8:9] offset:264          // 000000008EC4: DD348108 0008D706
	global_atomic_add_f32 v6, v219, s[8:9] offset:520          // 000000008ECC: DD348208 0008DB06
	global_atomic_add_f32 v6, v223, s[8:9] offset:776          // 000000008ED4: DD348308 0008DF06
	s_mov_b64 exec, s[36:37]                                   // 000000008EDC: BEFE0124
	s_branch label_2F70                                        // 000000008EE0: BF821634

0000000000008ee4 <label_193C>:
	s_waitcnt vmcnt(6) lgkmcnt(0)                              // 000000008EE4: BF8C0076
	s_barrier                                                  // 000000008EE8: BF8A0000
	v_mfma_f32_16x16x32_fp8_fp8 v[64:67], a[80:81], a[0:1], v[64:67]// 000000008EEC: D3F30040 1D020150
	buffer_load_dwordx4 a[112:115], v58, s[84:87], 0 offen     // 000000008EF4: E05C1000 8095703A
	v_mfma_f32_16x16x32_fp8_fp8 v[64:67], a[82:83], a[2:3], v[64:67]// 000000008EFC: D3F30040 1D020552
	v_mfma_f32_16x16x32_fp8_fp8 v[64:67], a[84:85], a[4:5], v[64:67]// 000000008F04: D3F30040 1D020954
	v_mfma_f32_16x16x32_fp8_fp8 v[64:67], a[86:87], a[6:7], v[64:67]// 000000008F0C: D3F30040 1D020D56
	v_mfma_f32_16x16x32_fp8_fp8 v[68:71], a[80:81], a[8:9], v[68:71]// 000000008F14: D3F30044 1D121150
	buffer_load_dwordx4 a[116:119], v58, s[84:87], 0 offen offset:1024// 000000008F1C: E05C1400 8095743A
	v_mfma_f32_16x16x32_fp8_fp8 v[68:71], a[82:83], a[10:11], v[68:71]// 000000008F24: D3F30044 1D121552
	v_mfma_f32_16x16x32_fp8_fp8 v[68:71], a[84:85], a[12:13], v[68:71]// 000000008F2C: D3F30044 1D121954
	v_mfma_f32_16x16x32_fp8_fp8 v[68:71], a[86:87], a[14:15], v[68:71]// 000000008F34: D3F30044 1D121D56
	v_mfma_f32_16x16x32_fp8_fp8 v[72:75], a[80:81], a[16:17], v[72:75]// 000000008F3C: D3F30048 1D222150
	buffer_load_dwordx4 a[120:123], v59, s[84:87], 0 offen     // 000000008F44: E05C1000 8095783B
	v_mfma_f32_16x16x32_fp8_fp8 v[72:75], a[82:83], a[18:19], v[72:75]// 000000008F4C: D3F30048 1D222552
	v_mfma_f32_16x16x32_fp8_fp8 v[72:75], a[84:85], a[20:21], v[72:75]// 000000008F54: D3F30048 1D222954
	v_mfma_f32_16x16x32_fp8_fp8 v[72:75], a[86:87], a[22:23], v[72:75]// 000000008F5C: D3F30048 1D222D56
	v_mfma_f32_16x16x32_fp8_fp8 v[76:79], a[80:81], a[24:25], v[76:79]// 000000008F64: D3F3004C 1D323150
	buffer_load_dwordx4 a[124:127], v59, s[84:87], 0 offen offset:1024// 000000008F6C: E05C1400 80957C3B
	v_mfma_f32_16x16x32_fp8_fp8 v[76:79], a[82:83], a[26:27], v[76:79]// 000000008F74: D3F3004C 1D323552
	v_mfma_f32_16x16x32_fp8_fp8 v[76:79], a[84:85], a[28:29], v[76:79]// 000000008F7C: D3F3004C 1D323954
	v_mfma_f32_16x16x32_fp8_fp8 v[76:79], a[86:87], a[30:31], v[76:79]// 000000008F84: D3F3004C 1D323D56
	v_mfma_f32_16x16x32_fp8_fp8 v[80:83], a[80:81], a[32:33], v[80:83]// 000000008F8C: D3F30050 1D424150
	buffer_load_dwordx4 a[128:131], v60, s[84:87], 0 offen     // 000000008F94: E05C1000 8095803C
	v_mfma_f32_16x16x32_fp8_fp8 v[80:83], a[82:83], a[34:35], v[80:83]// 000000008F9C: D3F30050 1D424552
	v_mfma_f32_16x16x32_fp8_fp8 v[80:83], a[84:85], a[36:37], v[80:83]// 000000008FA4: D3F30050 1D424954
	v_mfma_f32_16x16x32_fp8_fp8 v[80:83], a[86:87], a[38:39], v[80:83]// 000000008FAC: D3F30050 1D424D56
	s_waitcnt vmcnt(9)                                         // 000000008FB4: BF8C0F79
	v_mfma_f32_16x16x32_fp8_fp8 v[84:87], a[88:89], a[0:1], v[84:87]// 000000008FB8: D3F30054 1D520158
	buffer_load_dwordx4 a[132:135], v60, s[84:87], 0 offen offset:1024// 000000008FC0: E05C1400 8095843C
	v_mfma_f32_16x16x32_fp8_fp8 v[84:87], a[90:91], a[2:3], v[84:87]// 000000008FC8: D3F30054 1D52055A
	v_mfma_f32_16x16x32_fp8_fp8 v[84:87], a[92:93], a[4:5], v[84:87]// 000000008FD0: D3F30054 1D52095C
	v_mfma_f32_16x16x32_fp8_fp8 v[84:87], a[94:95], a[6:7], v[84:87]// 000000008FD8: D3F30054 1D520D5E
	v_mfma_f32_16x16x32_fp8_fp8 v[88:91], a[88:89], a[8:9], v[88:91]// 000000008FE0: D3F30058 1D621158
	buffer_load_dwordx4 a[136:139], v61, s[84:87], 0 offen     // 000000008FE8: E05C1000 8095883D
	v_mfma_f32_16x16x32_fp8_fp8 v[88:91], a[90:91], a[10:11], v[88:91]// 000000008FF0: D3F30058 1D62155A
	v_mfma_f32_16x16x32_fp8_fp8 v[88:91], a[92:93], a[12:13], v[88:91]// 000000008FF8: D3F30058 1D62195C
	v_mfma_f32_16x16x32_fp8_fp8 v[88:91], a[94:95], a[14:15], v[88:91]// 000000009000: D3F30058 1D621D5E
	v_mfma_f32_16x16x32_fp8_fp8 v[92:95], a[88:89], a[16:17], v[92:95]// 000000009008: D3F3005C 1D722158
	buffer_load_dwordx4 a[140:143], v61, s[84:87], 0 offen offset:1024// 000000009010: E05C1400 80958C3D
	buffer_load_dword v48, s[20:23], 0 offen lds               // 000000009018: E0511000 80050030
	s_add_u32 m0, 0x100, s48                                   // 000000009020: 807C30FF 00000100
	v_mfma_f32_16x16x32_fp8_fp8 v[92:95], a[90:91], a[18:19], v[92:95]// 000000009028: D3F3005C 1D72255A
	v_mfma_f32_16x16x32_fp8_fp8 v[92:95], a[92:93], a[20:21], v[92:95]// 000000009030: D3F3005C 1D72295C
	buffer_load_dword v49, s[20:23], 0 offen lds               // 000000009038: E0511000 80050031
	s_add_u32 m0, 0x200, s48                                   // 000000009040: 807C30FF 00000200
	v_mfma_f32_16x16x32_fp8_fp8 v[92:95], a[94:95], a[22:23], v[92:95]// 000000009048: D3F3005C 1D722D5E
	v_mfma_f32_16x16x32_fp8_fp8 v[96:99], a[88:89], a[24:25], v[96:99]// 000000009050: D3F30060 1D823158
	buffer_load_dword v50, s[20:23], 0 offen lds               // 000000009058: E0511000 80050032
	s_add_u32 m0, 0x300, s48                                   // 000000009060: 807C30FF 00000300
	v_mfma_f32_16x16x32_fp8_fp8 v[96:99], a[90:91], a[26:27], v[96:99]// 000000009068: D3F30060 1D82355A
	v_mfma_f32_16x16x32_fp8_fp8 v[96:99], a[92:93], a[28:29], v[96:99]// 000000009070: D3F30060 1D82395C
	buffer_load_dword v51, s[20:23], 0 offen lds               // 000000009078: E0511000 80050033
	s_add_u32 m0, 0x400, s48                                   // 000000009080: 807C30FF 00000400
	v_mfma_f32_16x16x32_fp8_fp8 v[96:99], a[94:95], a[30:31], v[96:99]// 000000009088: D3F30060 1D823D5E
	v_mfma_f32_16x16x32_fp8_fp8 v[100:103], a[88:89], a[32:33], v[100:103]// 000000009090: D3F30064 1D924158
	buffer_load_dword v52, s[20:23], 0 offen lds               // 000000009098: E0511000 80050034
	s_add_u32 m0, 0x500, s48                                   // 0000000090A0: 807C30FF 00000500
	v_mfma_f32_16x16x32_fp8_fp8 v[100:103], a[90:91], a[34:35], v[100:103]// 0000000090A8: D3F30064 1D92455A
	v_mfma_f32_16x16x32_fp8_fp8 v[100:103], a[92:93], a[36:37], v[100:103]// 0000000090B0: D3F30064 1D92495C
	buffer_load_dword v53, s[20:23], 0 offen lds               // 0000000090B8: E0511000 80050035
	s_add_u32 m0, 0x600, s48                                   // 0000000090C0: 807C30FF 00000600
	v_mfma_f32_16x16x32_fp8_fp8 v[100:103], a[94:95], a[38:39], v[100:103]// 0000000090C8: D3F30064 1D924D5E
	s_waitcnt vmcnt(16)                                        // 0000000090D0: BF8C4F70
	v_mfma_f32_16x16x32_fp8_fp8 v[104:107], a[96:97], a[0:1], v[104:107]// 0000000090D4: D3F30068 1DA20160
	buffer_load_dword v54, s[20:23], 0 offen lds               // 0000000090DC: E0511000 80050036
	s_add_u32 m0, 0x700, s48                                   // 0000000090E4: 807C30FF 00000700
	v_mfma_f32_16x16x32_fp8_fp8 v[104:107], a[98:99], a[2:3], v[104:107]// 0000000090EC: D3F30068 1DA20562
	v_mfma_f32_16x16x32_fp8_fp8 v[104:107], a[100:101], a[4:5], v[104:107]// 0000000090F4: D3F30068 1DA20964
	buffer_load_dword v55, s[20:23], 0 offen lds               // 0000000090FC: E0511000 80050037
	s_add_u32 m0, 0x800, s48                                   // 000000009104: 807C30FF 00000800
	v_mfma_f32_16x16x32_fp8_fp8 v[104:107], a[102:103], a[6:7], v[104:107]// 00000000910C: D3F30068 1DA20D66
	v_mfma_f32_16x16x32_fp8_fp8 v[108:111], a[96:97], a[8:9], v[108:111]// 000000009114: D3F3006C 1DB21160
	buffer_load_dword v56, s[20:23], 0 offen lds               // 00000000911C: E0511000 80050038
	s_add_u32 m0, 0x900, s48                                   // 000000009124: 807C30FF 00000900
	v_mfma_f32_16x16x32_fp8_fp8 v[108:111], a[98:99], a[10:11], v[108:111]// 00000000912C: D3F3006C 1DB21562
	v_mfma_f32_16x16x32_fp8_fp8 v[108:111], a[100:101], a[12:13], v[108:111]// 000000009134: D3F3006C 1DB21964
	buffer_load_dword v57, s[20:23], 0 offen lds               // 00000000913C: E0511000 80050039
	s_add_u32 m0, 0, s49                                       // 000000009144: 807C3180
	v_mfma_f32_16x16x32_fp8_fp8 v[108:111], a[102:103], a[14:15], v[108:111]// 000000009148: D3F3006C 1DB21D66
	v_mfma_f32_16x16x32_fp8_fp8 v[112:115], a[96:97], a[16:17], v[112:115]// 000000009150: D3F30070 1DC22160
	v_mfma_f32_16x16x32_fp8_fp8 v[112:115], a[98:99], a[18:19], v[112:115]// 000000009158: D3F30070 1DC22562
	v_mfma_f32_16x16x32_fp8_fp8 v[112:115], a[100:101], a[20:21], v[112:115]// 000000009160: D3F30070 1DC22964
	v_mfma_f32_16x16x32_fp8_fp8 v[112:115], a[102:103], a[22:23], v[112:115]// 000000009168: D3F30070 1DC22D66
	v_mfma_f32_16x16x32_fp8_fp8 v[116:119], a[96:97], a[24:25], v[116:119]// 000000009170: D3F30074 1DD23160
	v_mfma_f32_16x16x32_fp8_fp8 v[116:119], a[98:99], a[26:27], v[116:119]// 000000009178: D3F30074 1DD23562
	v_mfma_f32_16x16x32_fp8_fp8 v[116:119], a[100:101], a[28:29], v[116:119]// 000000009180: D3F30074 1DD23964
	v_mfma_f32_16x16x32_fp8_fp8 v[116:119], a[102:103], a[30:31], v[116:119]// 000000009188: D3F30074 1DD23D66
	v_mfma_f32_16x16x32_fp8_fp8 v[120:123], a[96:97], a[32:33], v[120:123]// 000000009190: D3F30078 1DE24160
	v_mfma_f32_16x16x32_fp8_fp8 v[120:123], a[98:99], a[34:35], v[120:123]// 000000009198: D3F30078 1DE24562
	v_mfma_f32_16x16x32_fp8_fp8 v[120:123], a[100:101], a[36:37], v[120:123]// 0000000091A0: D3F30078 1DE24964
	v_mfma_f32_16x16x32_fp8_fp8 v[120:123], a[102:103], a[38:39], v[120:123]// 0000000091A8: D3F30078 1DE24D66
	s_waitcnt vmcnt(18)                                        // 0000000091B0: BF8C4F72
	v_mfma_f32_16x16x32_fp8_fp8 v[124:127], a[104:105], a[0:1], v[124:127]// 0000000091B4: D3F3007C 1DF20168
	v_mfma_f32_16x16x32_fp8_fp8 v[124:127], a[106:107], a[2:3], v[124:127]// 0000000091BC: D3F3007C 1DF2056A
	v_mfma_f32_16x16x32_fp8_fp8 v[124:127], a[108:109], a[4:5], v[124:127]// 0000000091C4: D3F3007C 1DF2096C
	v_mfma_f32_16x16x32_fp8_fp8 v[124:127], a[110:111], a[6:7], v[124:127]// 0000000091CC: D3F3007C 1DF20D6E
	v_mfma_f32_16x16x32_fp8_fp8 v[128:131], a[104:105], a[8:9], v[128:131]// 0000000091D4: D3F30080 1E021168
	v_mfma_f32_16x16x32_fp8_fp8 v[128:131], a[106:107], a[10:11], v[128:131]// 0000000091DC: D3F30080 1E02156A
	v_mfma_f32_16x16x32_fp8_fp8 v[128:131], a[108:109], a[12:13], v[128:131]// 0000000091E4: D3F30080 1E02196C
	v_mfma_f32_16x16x32_fp8_fp8 v[128:131], a[110:111], a[14:15], v[128:131]// 0000000091EC: D3F30080 1E021D6E
	v_mfma_f32_16x16x32_fp8_fp8 v[132:135], a[104:105], a[16:17], v[132:135]// 0000000091F4: D3F30084 1E122168
	v_mfma_f32_16x16x32_fp8_fp8 v[132:135], a[106:107], a[18:19], v[132:135]// 0000000091FC: D3F30084 1E12256A
	v_mfma_f32_16x16x32_fp8_fp8 v[132:135], a[108:109], a[20:21], v[132:135]// 000000009204: D3F30084 1E12296C
	v_mfma_f32_16x16x32_fp8_fp8 v[132:135], a[110:111], a[22:23], v[132:135]// 00000000920C: D3F30084 1E122D6E
	v_mfma_f32_16x16x32_fp8_fp8 v[136:139], a[104:105], a[24:25], v[136:139]// 000000009214: D3F30088 1E223168
	v_mfma_f32_16x16x32_fp8_fp8 v[136:139], a[106:107], a[26:27], v[136:139]// 00000000921C: D3F30088 1E22356A
	v_mfma_f32_16x16x32_fp8_fp8 v[136:139], a[108:109], a[28:29], v[136:139]// 000000009224: D3F30088 1E22396C
	v_mfma_f32_16x16x32_fp8_fp8 v[136:139], a[110:111], a[30:31], v[136:139]// 00000000922C: D3F30088 1E223D6E
	v_mfma_f32_16x16x32_fp8_fp8 v[140:143], a[104:105], a[32:33], v[140:143]// 000000009234: D3F3008C 1E324168
	v_mfma_f32_16x16x32_fp8_fp8 v[140:143], a[106:107], a[34:35], v[140:143]// 00000000923C: D3F3008C 1E32456A
	s_add_u32 s60, 0x80, s80                                   // 000000009244: 803C50FF 00000080
	s_cmp_lt_u32 s60, s81                                      // 00000000924C: BF0A513C
	s_cselect_b32 s83, s83, 0                                  // 000000009250: 85538053
	v_mfma_f32_16x16x32_fp8_fp8 v[140:143], a[108:109], a[36:37], v[140:143]// 000000009254: D3F3008C 1E32496C
	v_mfma_f32_16x16x32_fp8_fp8 v[140:143], a[110:111], a[38:39], v[140:143]// 00000000925C: D3F3008C 1E324D6E
	s_waitcnt vmcnt(10)                                        // 000000009264: BF8C0F7A
	v_mfma_f32_16x16x32_fp8_fp8 v[144:147], a[112:113], a[0:1], v[144:147]// 000000009268: D3F30090 1E420170
	buffer_load_dwordx4 a[80:83], v58, s[24:27], 0 offen       // 000000009270: E05C1000 8086503A
	v_mfma_f32_16x16x32_fp8_fp8 v[144:147], a[114:115], a[2:3], v[144:147]// 000000009278: D3F30090 1E420572
	v_mfma_f32_16x16x32_fp8_fp8 v[144:147], a[116:117], a[4:5], v[144:147]// 000000009280: D3F30090 1E420974
	ds_read_b128 a[40:43], v2 offset:10368                     // 000000009288: DBFE2880 28000002
	ds_read_b128 a[44:47], v2 offset:10432                     // 000000009290: DBFE28C0 2C000002
	v_mfma_f32_16x16x32_fp8_fp8 v[144:147], a[118:119], a[6:7], v[144:147]// 000000009298: D3F30090 1E420D76
	v_mfma_f32_16x16x32_fp8_fp8 v[164:167], a[120:121], a[0:1], v[164:167]// 0000000092A0: D3F300A4 1E920178
	buffer_load_dwordx4 a[84:87], v58, s[24:27], 0 offen offset:1024// 0000000092A8: E05C1400 8086543A
	v_mfma_f32_16x16x32_fp8_fp8 v[164:167], a[122:123], a[2:3], v[164:167]// 0000000092B0: D3F300A4 1E92057A
	v_mfma_f32_16x16x32_fp8_fp8 v[164:167], a[124:125], a[4:5], v[164:167]// 0000000092B8: D3F300A4 1E92097C
	ds_read_b128 a[48:51], v2 offset:10880                     // 0000000092C0: DBFE2A80 30000002
	ds_read_b128 a[52:55], v2 offset:10944                     // 0000000092C8: DBFE2AC0 34000002
	v_mfma_f32_16x16x32_fp8_fp8 v[164:167], a[126:127], a[6:7], v[164:167]// 0000000092D0: D3F300A4 1E920D7E
	v_mfma_f32_16x16x32_fp8_fp8 v[184:187], a[128:129], a[0:1], v[184:187]// 0000000092D8: D3F300B8 1EE20180
	buffer_load_dwordx4 a[88:91], v59, s[24:27], 0 offen       // 0000000092E0: E05C1000 8086583B
	v_mfma_f32_16x16x32_fp8_fp8 v[184:187], a[130:131], a[2:3], v[184:187]// 0000000092E8: D3F300B8 1EE20582
	v_mfma_f32_16x16x32_fp8_fp8 v[184:187], a[132:133], a[4:5], v[184:187]// 0000000092F0: D3F300B8 1EE20984
	ds_read_b128 a[56:59], v2 offset:11392                     // 0000000092F8: DBFE2C80 38000002
	ds_read_b128 a[60:63], v2 offset:11456                     // 000000009300: DBFE2CC0 3C000002
	v_mfma_f32_16x16x32_fp8_fp8 v[184:187], a[134:135], a[6:7], v[184:187]// 000000009308: D3F300B8 1EE20D86
	v_mfma_f32_16x16x32_fp8_fp8 v[204:207], a[136:137], a[0:1], v[204:207]// 000000009310: D3F300CC 1F320188
	buffer_load_dwordx4 a[92:95], v59, s[24:27], 0 offen offset:1024// 000000009318: E05C1400 80865C3B
	v_mfma_f32_16x16x32_fp8_fp8 v[204:207], a[138:139], a[2:3], v[204:207]// 000000009320: D3F300CC 1F32058A
	v_mfma_f32_16x16x32_fp8_fp8 v[204:207], a[140:141], a[4:5], v[204:207]// 000000009328: D3F300CC 1F32098C
	ds_read_b128 a[64:67], v2 offset:11904                     // 000000009330: DBFE2E80 40000002
	ds_read_b128 a[68:71], v2 offset:11968                     // 000000009338: DBFE2EC0 44000002
	v_mfma_f32_16x16x32_fp8_fp8 v[204:207], a[142:143], a[6:7], v[204:207]// 000000009340: D3F300CC 1F320D8E
	v_mfma_f32_16x16x32_fp8_fp8 v[148:151], a[112:113], a[8:9], v[148:151]// 000000009348: D3F30094 1E521170
	buffer_load_dwordx4 a[96:99], v60, s[24:27], 0 offen       // 000000009350: E05C1000 8086603C
	v_mfma_f32_16x16x32_fp8_fp8 v[148:151], a[114:115], a[10:11], v[148:151]// 000000009358: D3F30094 1E521572
	v_mfma_f32_16x16x32_fp8_fp8 v[148:151], a[116:117], a[12:13], v[148:151]// 000000009360: D3F30094 1E521974
	ds_read_b128 a[72:75], v2 offset:12416                     // 000000009368: DBFE3080 48000002
	ds_read_b128 a[76:79], v2 offset:12480                     // 000000009370: DBFE30C0 4C000002
	v_mfma_f32_16x16x32_fp8_fp8 v[148:151], a[118:119], a[14:15], v[148:151]// 000000009378: D3F30094 1E521D76
	v_mfma_f32_16x16x32_fp8_fp8 v[168:171], a[120:121], a[8:9], v[168:171]// 000000009380: D3F300A8 1EA21178
	buffer_load_dwordx4 a[100:103], v60, s[24:27], 0 offen offset:1024// 000000009388: E05C1400 8086643C
	v_mfma_f32_16x16x32_fp8_fp8 v[168:171], a[122:123], a[10:11], v[168:171]// 000000009390: D3F300A8 1EA2157A
	v_mfma_f32_16x16x32_fp8_fp8 v[168:171], a[124:125], a[12:13], v[168:171]// 000000009398: D3F300A8 1EA2197C
	v_mfma_f32_16x16x32_fp8_fp8 v[168:171], a[126:127], a[14:15], v[168:171]// 0000000093A0: D3F300A8 1EA21D7E
	v_mfma_f32_16x16x32_fp8_fp8 v[188:191], a[128:129], a[8:9], v[188:191]// 0000000093A8: D3F300BC 1EF21180
	buffer_load_dwordx4 a[104:107], v61, s[24:27], 0 offen     // 0000000093B0: E05C1000 8086683D
	v_mfma_f32_16x16x32_fp8_fp8 v[188:191], a[130:131], a[10:11], v[188:191]// 0000000093B8: D3F300BC 1EF21582
	v_mfma_f32_16x16x32_fp8_fp8 v[188:191], a[132:133], a[12:13], v[188:191]// 0000000093C0: D3F300BC 1EF21984
	v_mfma_f32_16x16x32_fp8_fp8 v[188:191], a[134:135], a[14:15], v[188:191]// 0000000093C8: D3F300BC 1EF21D86
	v_mfma_f32_16x16x32_fp8_fp8 v[208:211], a[136:137], a[8:9], v[208:211]// 0000000093D0: D3F300D0 1F421188
	buffer_load_dwordx4 a[108:111], v61, s[24:27], 0 offen offset:1024// 0000000093D8: E05C1400 80866C3D
	v_mfma_f32_16x16x32_fp8_fp8 v[208:211], a[138:139], a[10:11], v[208:211]// 0000000093E0: D3F300D0 1F42158A
	v_mfma_f32_16x16x32_fp8_fp8 v[208:211], a[140:141], a[12:13], v[208:211]// 0000000093E8: D3F300D0 1F42198C
	v_mfma_f32_16x16x32_fp8_fp8 v[208:211], a[142:143], a[14:15], v[208:211]// 0000000093F0: D3F300D0 1F421D8E
	v_mfma_f32_16x16x32_fp8_fp8 v[152:155], a[112:113], a[16:17], v[152:155]// 0000000093F8: D3F30098 1E622170
	v_mfma_f32_16x16x32_fp8_fp8 v[152:155], a[114:115], a[18:19], v[152:155]// 000000009400: D3F30098 1E622572
	v_mfma_f32_16x16x32_fp8_fp8 v[152:155], a[116:117], a[20:21], v[152:155]// 000000009408: D3F30098 1E622974
	v_mfma_f32_16x16x32_fp8_fp8 v[152:155], a[118:119], a[22:23], v[152:155]// 000000009410: D3F30098 1E622D76
	v_mfma_f32_16x16x32_fp8_fp8 v[172:175], a[120:121], a[16:17], v[172:175]// 000000009418: D3F300AC 1EB22178
	v_mfma_f32_16x16x32_fp8_fp8 v[172:175], a[122:123], a[18:19], v[172:175]// 000000009420: D3F300AC 1EB2257A
	v_mfma_f32_16x16x32_fp8_fp8 v[172:175], a[124:125], a[20:21], v[172:175]// 000000009428: D3F300AC 1EB2297C
	v_mfma_f32_16x16x32_fp8_fp8 v[172:175], a[126:127], a[22:23], v[172:175]// 000000009430: D3F300AC 1EB22D7E
	v_mfma_f32_16x16x32_fp8_fp8 v[192:195], a[128:129], a[16:17], v[192:195]// 000000009438: D3F300C0 1F022180
	v_mfma_f32_16x16x32_fp8_fp8 v[192:195], a[130:131], a[18:19], v[192:195]// 000000009440: D3F300C0 1F022582
	v_mfma_f32_16x16x32_fp8_fp8 v[192:195], a[132:133], a[20:21], v[192:195]// 000000009448: D3F300C0 1F022984
	v_mfma_f32_16x16x32_fp8_fp8 v[192:195], a[134:135], a[22:23], v[192:195]// 000000009450: D3F300C0 1F022D86
	v_mfma_f32_16x16x32_fp8_fp8 v[212:215], a[136:137], a[16:17], v[212:215]// 000000009458: D3F300D4 1F522188
	v_mfma_f32_16x16x32_fp8_fp8 v[212:215], a[138:139], a[18:19], v[212:215]// 000000009460: D3F300D4 1F52258A
	v_mfma_f32_16x16x32_fp8_fp8 v[212:215], a[140:141], a[20:21], v[212:215]// 000000009468: D3F300D4 1F52298C
	v_mfma_f32_16x16x32_fp8_fp8 v[212:215], a[142:143], a[22:23], v[212:215]// 000000009470: D3F300D4 1F522D8E
	v_mfma_f32_16x16x32_fp8_fp8 v[156:159], a[112:113], a[24:25], v[156:159]// 000000009478: D3F3009C 1E723170
	v_mfma_f32_16x16x32_fp8_fp8 v[156:159], a[114:115], a[26:27], v[156:159]// 000000009480: D3F3009C 1E723572
	v_mfma_f32_16x16x32_fp8_fp8 v[156:159], a[116:117], a[28:29], v[156:159]// 000000009488: D3F3009C 1E723974
	v_mfma_f32_16x16x32_fp8_fp8 v[156:159], a[118:119], a[30:31], v[156:159]// 000000009490: D3F3009C 1E723D76
	v_mfma_f32_16x16x32_fp8_fp8 v[176:179], a[120:121], a[24:25], v[176:179]// 000000009498: D3F300B0 1EC23178
	v_mfma_f32_16x16x32_fp8_fp8 v[176:179], a[122:123], a[26:27], v[176:179]// 0000000094A0: D3F300B0 1EC2357A
	v_mfma_f32_16x16x32_fp8_fp8 v[176:179], a[124:125], a[28:29], v[176:179]// 0000000094A8: D3F300B0 1EC2397C
	v_mfma_f32_16x16x32_fp8_fp8 v[176:179], a[126:127], a[30:31], v[176:179]// 0000000094B0: D3F300B0 1EC23D7E
	v_mfma_f32_16x16x32_fp8_fp8 v[196:199], a[128:129], a[24:25], v[196:199]// 0000000094B8: D3F300C4 1F123180
	v_mfma_f32_16x16x32_fp8_fp8 v[196:199], a[130:131], a[26:27], v[196:199]// 0000000094C0: D3F300C4 1F123582
	v_mfma_f32_16x16x32_fp8_fp8 v[196:199], a[132:133], a[28:29], v[196:199]// 0000000094C8: D3F300C4 1F123984
	v_mfma_f32_16x16x32_fp8_fp8 v[196:199], a[134:135], a[30:31], v[196:199]// 0000000094D0: D3F300C4 1F123D86
	v_mfma_f32_16x16x32_fp8_fp8 v[216:219], a[136:137], a[24:25], v[216:219]// 0000000094D8: D3F300D8 1F623188
	v_mfma_f32_16x16x32_fp8_fp8 v[216:219], a[138:139], a[26:27], v[216:219]// 0000000094E0: D3F300D8 1F62358A
	v_mfma_f32_16x16x32_fp8_fp8 v[216:219], a[140:141], a[28:29], v[216:219]// 0000000094E8: D3F300D8 1F62398C
	v_mfma_f32_16x16x32_fp8_fp8 v[216:219], a[142:143], a[30:31], v[216:219]// 0000000094F0: D3F300D8 1F623D8E
	v_mfma_f32_16x16x32_fp8_fp8 v[160:163], a[112:113], a[32:33], v[160:163]// 0000000094F8: D3F300A0 1E824170
	v_mfma_f32_16x16x32_fp8_fp8 v[160:163], a[114:115], a[34:35], v[160:163]// 000000009500: D3F300A0 1E824572
	v_mfma_f32_16x16x32_fp8_fp8 v[160:163], a[116:117], a[36:37], v[160:163]// 000000009508: D3F300A0 1E824974
	v_mfma_f32_16x16x32_fp8_fp8 v[160:163], a[118:119], a[38:39], v[160:163]// 000000009510: D3F300A0 1E824D76
	v_mfma_f32_16x16x32_fp8_fp8 v[180:183], a[120:121], a[32:33], v[180:183]// 000000009518: D3F300B4 1ED24178
	v_mfma_f32_16x16x32_fp8_fp8 v[180:183], a[122:123], a[34:35], v[180:183]// 000000009520: D3F300B4 1ED2457A
	v_mfma_f32_16x16x32_fp8_fp8 v[180:183], a[124:125], a[36:37], v[180:183]// 000000009528: D3F300B4 1ED2497C
	v_mfma_f32_16x16x32_fp8_fp8 v[180:183], a[126:127], a[38:39], v[180:183]// 000000009530: D3F300B4 1ED24D7E
	v_mfma_f32_16x16x32_fp8_fp8 v[200:203], a[128:129], a[32:33], v[200:203]// 000000009538: D3F300C8 1F224180
	v_mfma_f32_16x16x32_fp8_fp8 v[200:203], a[130:131], a[34:35], v[200:203]// 000000009540: D3F300C8 1F224582
	v_mfma_f32_16x16x32_fp8_fp8 v[200:203], a[132:133], a[36:37], v[200:203]// 000000009548: D3F300C8 1F224984
	s_add_u32 s60, 0x180, s80                                  // 000000009550: 803C50FF 00000180
	s_cmp_lt_u32 s60, s81                                      // 000000009558: BF0A513C
	s_cselect_b32 s57, s57, 0                                  // 00000000955C: 85398039
	v_mfma_f32_16x16x32_fp8_fp8 v[200:203], a[134:135], a[38:39], v[200:203]// 000000009560: D3F300C8 1F224D86
	s_add_u32 s60, 0x100, s80                                  // 000000009568: 803C50FF 00000100
	s_cmp_lt_u32 s60, s81                                      // 000000009570: BF0A513C
	s_cselect_b32 s58, s58, 0                                  // 000000009574: 853A803A
	v_mfma_f32_16x16x32_fp8_fp8 v[220:223], a[136:137], a[32:33], v[220:223]// 000000009578: D3F300DC 1F724188
	s_add_u32 s24, s58, s24                                    // 000000009580: 8018183A
	s_addc_u32 s25, 0, s25                                     // 000000009584: 82191980
	v_mfma_f32_16x16x32_fp8_fp8 v[220:223], a[138:139], a[34:35], v[220:223]// 000000009588: D3F300DC 1F72458A
	s_add_u32 s20, s57, s20                                    // 000000009590: 80141439
	s_addc_u32 s21, 0, s21                                     // 000000009594: 82151580
	v_mfma_f32_16x16x32_fp8_fp8 v[220:223], a[140:141], a[36:37], v[220:223]// 000000009598: D3F300DC 1F72498C
	s_add_u32 s84, s83, s84                                    // 0000000095A0: 80545453
	s_addc_u32 s85, 0, s85                                     // 0000000095A4: 82555580
	v_mfma_f32_16x16x32_fp8_fp8 v[220:223], a[142:143], a[38:39], v[220:223]// 0000000095A8: D3F300DC 1F724D8E
	s_addk_i32 s80, 0x80                                       // 0000000095B0: B7500080
	s_cmp_lt_i32 s80, s81                                      // 0000000095B4: BF045150
	s_cbranch_scc0 label_1CA9                                  // 0000000095B8: BF8401B7
	s_waitcnt vmcnt(6) lgkmcnt(0)                              // 0000000095BC: BF8C0076
	s_barrier                                                  // 0000000095C0: BF8A0000
	v_mfma_f32_16x16x32_fp8_fp8 v[64:67], a[80:81], a[40:41], v[64:67]// 0000000095C4: D3F30040 1D025150
	buffer_load_dwordx4 a[112:115], v58, s[84:87], 0 offen     // 0000000095CC: E05C1000 8095703A
	v_mfma_f32_16x16x32_fp8_fp8 v[64:67], a[82:83], a[42:43], v[64:67]// 0000000095D4: D3F30040 1D025552
	v_mfma_f32_16x16x32_fp8_fp8 v[64:67], a[84:85], a[44:45], v[64:67]// 0000000095DC: D3F30040 1D025954
	v_mfma_f32_16x16x32_fp8_fp8 v[64:67], a[86:87], a[46:47], v[64:67]// 0000000095E4: D3F30040 1D025D56
	v_mfma_f32_16x16x32_fp8_fp8 v[68:71], a[80:81], a[48:49], v[68:71]// 0000000095EC: D3F30044 1D126150
	buffer_load_dwordx4 a[116:119], v58, s[84:87], 0 offen offset:1024// 0000000095F4: E05C1400 8095743A
	v_mfma_f32_16x16x32_fp8_fp8 v[68:71], a[82:83], a[50:51], v[68:71]// 0000000095FC: D3F30044 1D126552
	v_mfma_f32_16x16x32_fp8_fp8 v[68:71], a[84:85], a[52:53], v[68:71]// 000000009604: D3F30044 1D126954
	v_mfma_f32_16x16x32_fp8_fp8 v[68:71], a[86:87], a[54:55], v[68:71]// 00000000960C: D3F30044 1D126D56
	v_mfma_f32_16x16x32_fp8_fp8 v[72:75], a[80:81], a[56:57], v[72:75]// 000000009614: D3F30048 1D227150
	buffer_load_dwordx4 a[120:123], v59, s[84:87], 0 offen     // 00000000961C: E05C1000 8095783B
	v_mfma_f32_16x16x32_fp8_fp8 v[72:75], a[82:83], a[58:59], v[72:75]// 000000009624: D3F30048 1D227552
	v_mfma_f32_16x16x32_fp8_fp8 v[72:75], a[84:85], a[60:61], v[72:75]// 00000000962C: D3F30048 1D227954
	v_mfma_f32_16x16x32_fp8_fp8 v[72:75], a[86:87], a[62:63], v[72:75]// 000000009634: D3F30048 1D227D56
	v_mfma_f32_16x16x32_fp8_fp8 v[76:79], a[80:81], a[64:65], v[76:79]// 00000000963C: D3F3004C 1D328150
	buffer_load_dwordx4 a[124:127], v59, s[84:87], 0 offen offset:1024// 000000009644: E05C1400 80957C3B
	v_mfma_f32_16x16x32_fp8_fp8 v[76:79], a[82:83], a[66:67], v[76:79]// 00000000964C: D3F3004C 1D328552
	v_mfma_f32_16x16x32_fp8_fp8 v[76:79], a[84:85], a[68:69], v[76:79]// 000000009654: D3F3004C 1D328954
	v_mfma_f32_16x16x32_fp8_fp8 v[76:79], a[86:87], a[70:71], v[76:79]// 00000000965C: D3F3004C 1D328D56
	v_mfma_f32_16x16x32_fp8_fp8 v[80:83], a[80:81], a[72:73], v[80:83]// 000000009664: D3F30050 1D429150
	buffer_load_dwordx4 a[128:131], v60, s[84:87], 0 offen     // 00000000966C: E05C1000 8095803C
	v_mfma_f32_16x16x32_fp8_fp8 v[80:83], a[82:83], a[74:75], v[80:83]// 000000009674: D3F30050 1D429552
	v_mfma_f32_16x16x32_fp8_fp8 v[80:83], a[84:85], a[76:77], v[80:83]// 00000000967C: D3F30050 1D429954
	v_mfma_f32_16x16x32_fp8_fp8 v[80:83], a[86:87], a[78:79], v[80:83]// 000000009684: D3F30050 1D429D56
	s_waitcnt vmcnt(9)                                         // 00000000968C: BF8C0F79
	v_mfma_f32_16x16x32_fp8_fp8 v[84:87], a[88:89], a[40:41], v[84:87]// 000000009690: D3F30054 1D525158
	buffer_load_dwordx4 a[132:135], v60, s[84:87], 0 offen offset:1024// 000000009698: E05C1400 8095843C
	v_mfma_f32_16x16x32_fp8_fp8 v[84:87], a[90:91], a[42:43], v[84:87]// 0000000096A0: D3F30054 1D52555A
	v_mfma_f32_16x16x32_fp8_fp8 v[84:87], a[92:93], a[44:45], v[84:87]// 0000000096A8: D3F30054 1D52595C
	v_mfma_f32_16x16x32_fp8_fp8 v[84:87], a[94:95], a[46:47], v[84:87]// 0000000096B0: D3F30054 1D525D5E
	v_mfma_f32_16x16x32_fp8_fp8 v[88:91], a[88:89], a[48:49], v[88:91]// 0000000096B8: D3F30058 1D626158
	buffer_load_dwordx4 a[136:139], v61, s[84:87], 0 offen     // 0000000096C0: E05C1000 8095883D
	v_mfma_f32_16x16x32_fp8_fp8 v[88:91], a[90:91], a[50:51], v[88:91]// 0000000096C8: D3F30058 1D62655A
	v_mfma_f32_16x16x32_fp8_fp8 v[88:91], a[92:93], a[52:53], v[88:91]// 0000000096D0: D3F30058 1D62695C
	v_mfma_f32_16x16x32_fp8_fp8 v[88:91], a[94:95], a[54:55], v[88:91]// 0000000096D8: D3F30058 1D626D5E
	v_mfma_f32_16x16x32_fp8_fp8 v[92:95], a[88:89], a[56:57], v[92:95]// 0000000096E0: D3F3005C 1D727158
	buffer_load_dwordx4 a[140:143], v61, s[84:87], 0 offen offset:1024// 0000000096E8: E05C1400 80958C3D
	buffer_load_dword v48, s[20:23], 0 offen lds               // 0000000096F0: E0511000 80050030
	s_add_u32 m0, 0x100, s49                                   // 0000000096F8: 807C31FF 00000100
	v_mfma_f32_16x16x32_fp8_fp8 v[92:95], a[90:91], a[58:59], v[92:95]// 000000009700: D3F3005C 1D72755A
	v_mfma_f32_16x16x32_fp8_fp8 v[92:95], a[92:93], a[60:61], v[92:95]// 000000009708: D3F3005C 1D72795C
	buffer_load_dword v49, s[20:23], 0 offen lds               // 000000009710: E0511000 80050031
	s_add_u32 m0, 0x200, s49                                   // 000000009718: 807C31FF 00000200
	v_mfma_f32_16x16x32_fp8_fp8 v[92:95], a[94:95], a[62:63], v[92:95]// 000000009720: D3F3005C 1D727D5E
	v_mfma_f32_16x16x32_fp8_fp8 v[96:99], a[88:89], a[64:65], v[96:99]// 000000009728: D3F30060 1D828158
	buffer_load_dword v50, s[20:23], 0 offen lds               // 000000009730: E0511000 80050032
	s_add_u32 m0, 0x300, s49                                   // 000000009738: 807C31FF 00000300
	v_mfma_f32_16x16x32_fp8_fp8 v[96:99], a[90:91], a[66:67], v[96:99]// 000000009740: D3F30060 1D82855A
	v_mfma_f32_16x16x32_fp8_fp8 v[96:99], a[92:93], a[68:69], v[96:99]// 000000009748: D3F30060 1D82895C
	buffer_load_dword v51, s[20:23], 0 offen lds               // 000000009750: E0511000 80050033
	s_add_u32 m0, 0x400, s49                                   // 000000009758: 807C31FF 00000400
	v_mfma_f32_16x16x32_fp8_fp8 v[96:99], a[94:95], a[70:71], v[96:99]// 000000009760: D3F30060 1D828D5E
	v_mfma_f32_16x16x32_fp8_fp8 v[100:103], a[88:89], a[72:73], v[100:103]// 000000009768: D3F30064 1D929158
	buffer_load_dword v52, s[20:23], 0 offen lds               // 000000009770: E0511000 80050034
	s_add_u32 m0, 0x500, s49                                   // 000000009778: 807C31FF 00000500
	v_mfma_f32_16x16x32_fp8_fp8 v[100:103], a[90:91], a[74:75], v[100:103]// 000000009780: D3F30064 1D92955A
	v_mfma_f32_16x16x32_fp8_fp8 v[100:103], a[92:93], a[76:77], v[100:103]// 000000009788: D3F30064 1D92995C
	buffer_load_dword v53, s[20:23], 0 offen lds               // 000000009790: E0511000 80050035
	s_add_u32 m0, 0x600, s49                                   // 000000009798: 807C31FF 00000600
	v_mfma_f32_16x16x32_fp8_fp8 v[100:103], a[94:95], a[78:79], v[100:103]// 0000000097A0: D3F30064 1D929D5E
	s_waitcnt vmcnt(16)                                        // 0000000097A8: BF8C4F70
	v_mfma_f32_16x16x32_fp8_fp8 v[104:107], a[96:97], a[40:41], v[104:107]// 0000000097AC: D3F30068 1DA25160
	buffer_load_dword v54, s[20:23], 0 offen lds               // 0000000097B4: E0511000 80050036
	s_add_u32 m0, 0x700, s49                                   // 0000000097BC: 807C31FF 00000700
	v_mfma_f32_16x16x32_fp8_fp8 v[104:107], a[98:99], a[42:43], v[104:107]// 0000000097C4: D3F30068 1DA25562
	v_mfma_f32_16x16x32_fp8_fp8 v[104:107], a[100:101], a[44:45], v[104:107]// 0000000097CC: D3F30068 1DA25964
	buffer_load_dword v55, s[20:23], 0 offen lds               // 0000000097D4: E0511000 80050037
	s_add_u32 m0, 0x800, s49                                   // 0000000097DC: 807C31FF 00000800
	v_mfma_f32_16x16x32_fp8_fp8 v[104:107], a[102:103], a[46:47], v[104:107]// 0000000097E4: D3F30068 1DA25D66
	v_mfma_f32_16x16x32_fp8_fp8 v[108:111], a[96:97], a[48:49], v[108:111]// 0000000097EC: D3F3006C 1DB26160
	buffer_load_dword v56, s[20:23], 0 offen lds               // 0000000097F4: E0511000 80050038
	s_add_u32 m0, 0x900, s49                                   // 0000000097FC: 807C31FF 00000900
	v_mfma_f32_16x16x32_fp8_fp8 v[108:111], a[98:99], a[50:51], v[108:111]// 000000009804: D3F3006C 1DB26562
	v_mfma_f32_16x16x32_fp8_fp8 v[108:111], a[100:101], a[52:53], v[108:111]// 00000000980C: D3F3006C 1DB26964
	buffer_load_dword v57, s[20:23], 0 offen lds               // 000000009814: E0511000 80050039
	s_add_u32 m0, 0, s48                                       // 00000000981C: 807C3080
	v_mfma_f32_16x16x32_fp8_fp8 v[108:111], a[102:103], a[54:55], v[108:111]// 000000009820: D3F3006C 1DB26D66
	v_mfma_f32_16x16x32_fp8_fp8 v[112:115], a[96:97], a[56:57], v[112:115]// 000000009828: D3F30070 1DC27160
	v_mfma_f32_16x16x32_fp8_fp8 v[112:115], a[98:99], a[58:59], v[112:115]// 000000009830: D3F30070 1DC27562
	v_mfma_f32_16x16x32_fp8_fp8 v[112:115], a[100:101], a[60:61], v[112:115]// 000000009838: D3F30070 1DC27964
	v_mfma_f32_16x16x32_fp8_fp8 v[112:115], a[102:103], a[62:63], v[112:115]// 000000009840: D3F30070 1DC27D66
	v_mfma_f32_16x16x32_fp8_fp8 v[116:119], a[96:97], a[64:65], v[116:119]// 000000009848: D3F30074 1DD28160
	v_mfma_f32_16x16x32_fp8_fp8 v[116:119], a[98:99], a[66:67], v[116:119]// 000000009850: D3F30074 1DD28562
	v_mfma_f32_16x16x32_fp8_fp8 v[116:119], a[100:101], a[68:69], v[116:119]// 000000009858: D3F30074 1DD28964
	v_mfma_f32_16x16x32_fp8_fp8 v[116:119], a[102:103], a[70:71], v[116:119]// 000000009860: D3F30074 1DD28D66
	v_mfma_f32_16x16x32_fp8_fp8 v[120:123], a[96:97], a[72:73], v[120:123]// 000000009868: D3F30078 1DE29160
	v_mfma_f32_16x16x32_fp8_fp8 v[120:123], a[98:99], a[74:75], v[120:123]// 000000009870: D3F30078 1DE29562
	v_mfma_f32_16x16x32_fp8_fp8 v[120:123], a[100:101], a[76:77], v[120:123]// 000000009878: D3F30078 1DE29964
	v_mfma_f32_16x16x32_fp8_fp8 v[120:123], a[102:103], a[78:79], v[120:123]// 000000009880: D3F30078 1DE29D66
	s_waitcnt vmcnt(18)                                        // 000000009888: BF8C4F72
	v_mfma_f32_16x16x32_fp8_fp8 v[124:127], a[104:105], a[40:41], v[124:127]// 00000000988C: D3F3007C 1DF25168
	v_mfma_f32_16x16x32_fp8_fp8 v[124:127], a[106:107], a[42:43], v[124:127]// 000000009894: D3F3007C 1DF2556A
	v_mfma_f32_16x16x32_fp8_fp8 v[124:127], a[108:109], a[44:45], v[124:127]// 00000000989C: D3F3007C 1DF2596C
	v_mfma_f32_16x16x32_fp8_fp8 v[124:127], a[110:111], a[46:47], v[124:127]// 0000000098A4: D3F3007C 1DF25D6E
	v_mfma_f32_16x16x32_fp8_fp8 v[128:131], a[104:105], a[48:49], v[128:131]// 0000000098AC: D3F30080 1E026168
	v_mfma_f32_16x16x32_fp8_fp8 v[128:131], a[106:107], a[50:51], v[128:131]// 0000000098B4: D3F30080 1E02656A
	v_mfma_f32_16x16x32_fp8_fp8 v[128:131], a[108:109], a[52:53], v[128:131]// 0000000098BC: D3F30080 1E02696C
	v_mfma_f32_16x16x32_fp8_fp8 v[128:131], a[110:111], a[54:55], v[128:131]// 0000000098C4: D3F30080 1E026D6E
	v_mfma_f32_16x16x32_fp8_fp8 v[132:135], a[104:105], a[56:57], v[132:135]// 0000000098CC: D3F30084 1E127168
	v_mfma_f32_16x16x32_fp8_fp8 v[132:135], a[106:107], a[58:59], v[132:135]// 0000000098D4: D3F30084 1E12756A
	v_mfma_f32_16x16x32_fp8_fp8 v[132:135], a[108:109], a[60:61], v[132:135]// 0000000098DC: D3F30084 1E12796C
	v_mfma_f32_16x16x32_fp8_fp8 v[132:135], a[110:111], a[62:63], v[132:135]// 0000000098E4: D3F30084 1E127D6E
	v_mfma_f32_16x16x32_fp8_fp8 v[136:139], a[104:105], a[64:65], v[136:139]// 0000000098EC: D3F30088 1E228168
	v_mfma_f32_16x16x32_fp8_fp8 v[136:139], a[106:107], a[66:67], v[136:139]// 0000000098F4: D3F30088 1E22856A
	v_mfma_f32_16x16x32_fp8_fp8 v[136:139], a[108:109], a[68:69], v[136:139]// 0000000098FC: D3F30088 1E22896C
	v_mfma_f32_16x16x32_fp8_fp8 v[136:139], a[110:111], a[70:71], v[136:139]// 000000009904: D3F30088 1E228D6E
	v_mfma_f32_16x16x32_fp8_fp8 v[140:143], a[104:105], a[72:73], v[140:143]// 00000000990C: D3F3008C 1E329168
	v_mfma_f32_16x16x32_fp8_fp8 v[140:143], a[106:107], a[74:75], v[140:143]// 000000009914: D3F3008C 1E32956A
	s_add_u32 s60, 0x80, s80                                   // 00000000991C: 803C50FF 00000080
	s_cmp_lt_u32 s60, s81                                      // 000000009924: BF0A513C
	s_cselect_b32 s83, s83, 0                                  // 000000009928: 85538053
	v_mfma_f32_16x16x32_fp8_fp8 v[140:143], a[108:109], a[76:77], v[140:143]// 00000000992C: D3F3008C 1E32996C
	v_mfma_f32_16x16x32_fp8_fp8 v[140:143], a[110:111], a[78:79], v[140:143]// 000000009934: D3F3008C 1E329D6E
	s_waitcnt vmcnt(10)                                        // 00000000993C: BF8C0F7A
	v_mfma_f32_16x16x32_fp8_fp8 v[144:147], a[112:113], a[40:41], v[144:147]// 000000009940: D3F30090 1E425170
	buffer_load_dwordx4 a[80:83], v58, s[24:27], 0 offen       // 000000009948: E05C1000 8086503A
	v_mfma_f32_16x16x32_fp8_fp8 v[144:147], a[114:115], a[42:43], v[144:147]// 000000009950: D3F30090 1E425572
	v_mfma_f32_16x16x32_fp8_fp8 v[144:147], a[116:117], a[44:45], v[144:147]// 000000009958: D3F30090 1E425974
	ds_read_b128 a[0:3], v2                                    // 000000009960: DBFE0000 00000002
	ds_read_b128 a[4:7], v2 offset:64                          // 000000009968: DBFE0040 04000002
	v_mfma_f32_16x16x32_fp8_fp8 v[144:147], a[118:119], a[46:47], v[144:147]// 000000009970: D3F30090 1E425D76
	v_mfma_f32_16x16x32_fp8_fp8 v[164:167], a[120:121], a[40:41], v[164:167]// 000000009978: D3F300A4 1E925178
	buffer_load_dwordx4 a[84:87], v58, s[24:27], 0 offen offset:1024// 000000009980: E05C1400 8086543A
	v_mfma_f32_16x16x32_fp8_fp8 v[164:167], a[122:123], a[42:43], v[164:167]// 000000009988: D3F300A4 1E92557A
	v_mfma_f32_16x16x32_fp8_fp8 v[164:167], a[124:125], a[44:45], v[164:167]// 000000009990: D3F300A4 1E92597C
	ds_read_b128 a[8:11], v2 offset:512                        // 000000009998: DBFE0200 08000002
	ds_read_b128 a[12:15], v2 offset:576                       // 0000000099A0: DBFE0240 0C000002
	v_mfma_f32_16x16x32_fp8_fp8 v[164:167], a[126:127], a[46:47], v[164:167]// 0000000099A8: D3F300A4 1E925D7E
	v_mfma_f32_16x16x32_fp8_fp8 v[184:187], a[128:129], a[40:41], v[184:187]// 0000000099B0: D3F300B8 1EE25180
	buffer_load_dwordx4 a[88:91], v59, s[24:27], 0 offen       // 0000000099B8: E05C1000 8086583B
	v_mfma_f32_16x16x32_fp8_fp8 v[184:187], a[130:131], a[42:43], v[184:187]// 0000000099C0: D3F300B8 1EE25582
	v_mfma_f32_16x16x32_fp8_fp8 v[184:187], a[132:133], a[44:45], v[184:187]// 0000000099C8: D3F300B8 1EE25984
	ds_read_b128 a[16:19], v2 offset:1024                      // 0000000099D0: DBFE0400 10000002
	ds_read_b128 a[20:23], v2 offset:1088                      // 0000000099D8: DBFE0440 14000002
	v_mfma_f32_16x16x32_fp8_fp8 v[184:187], a[134:135], a[46:47], v[184:187]// 0000000099E0: D3F300B8 1EE25D86
	v_mfma_f32_16x16x32_fp8_fp8 v[204:207], a[136:137], a[40:41], v[204:207]// 0000000099E8: D3F300CC 1F325188
	buffer_load_dwordx4 a[92:95], v59, s[24:27], 0 offen offset:1024// 0000000099F0: E05C1400 80865C3B
	v_mfma_f32_16x16x32_fp8_fp8 v[204:207], a[138:139], a[42:43], v[204:207]// 0000000099F8: D3F300CC 1F32558A
	v_mfma_f32_16x16x32_fp8_fp8 v[204:207], a[140:141], a[44:45], v[204:207]// 000000009A00: D3F300CC 1F32598C
	ds_read_b128 a[24:27], v2 offset:1536                      // 000000009A08: DBFE0600 18000002
	ds_read_b128 a[28:31], v2 offset:1600                      // 000000009A10: DBFE0640 1C000002
	v_mfma_f32_16x16x32_fp8_fp8 v[204:207], a[142:143], a[46:47], v[204:207]// 000000009A18: D3F300CC 1F325D8E
	v_mfma_f32_16x16x32_fp8_fp8 v[148:151], a[112:113], a[48:49], v[148:151]// 000000009A20: D3F30094 1E526170
	buffer_load_dwordx4 a[96:99], v60, s[24:27], 0 offen       // 000000009A28: E05C1000 8086603C
	v_mfma_f32_16x16x32_fp8_fp8 v[148:151], a[114:115], a[50:51], v[148:151]// 000000009A30: D3F30094 1E526572
	v_mfma_f32_16x16x32_fp8_fp8 v[148:151], a[116:117], a[52:53], v[148:151]// 000000009A38: D3F30094 1E526974
	ds_read_b128 a[32:35], v2 offset:2048                      // 000000009A40: DBFE0800 20000002
	ds_read_b128 a[36:39], v2 offset:2112                      // 000000009A48: DBFE0840 24000002
	v_mfma_f32_16x16x32_fp8_fp8 v[148:151], a[118:119], a[54:55], v[148:151]// 000000009A50: D3F30094 1E526D76
	v_mfma_f32_16x16x32_fp8_fp8 v[168:171], a[120:121], a[48:49], v[168:171]// 000000009A58: D3F300A8 1EA26178
	buffer_load_dwordx4 a[100:103], v60, s[24:27], 0 offen offset:1024// 000000009A60: E05C1400 8086643C
	v_mfma_f32_16x16x32_fp8_fp8 v[168:171], a[122:123], a[50:51], v[168:171]// 000000009A68: D3F300A8 1EA2657A
	v_mfma_f32_16x16x32_fp8_fp8 v[168:171], a[124:125], a[52:53], v[168:171]// 000000009A70: D3F300A8 1EA2697C
	v_mfma_f32_16x16x32_fp8_fp8 v[168:171], a[126:127], a[54:55], v[168:171]// 000000009A78: D3F300A8 1EA26D7E
	v_mfma_f32_16x16x32_fp8_fp8 v[188:191], a[128:129], a[48:49], v[188:191]// 000000009A80: D3F300BC 1EF26180
	buffer_load_dwordx4 a[104:107], v61, s[24:27], 0 offen     // 000000009A88: E05C1000 8086683D
	v_mfma_f32_16x16x32_fp8_fp8 v[188:191], a[130:131], a[50:51], v[188:191]// 000000009A90: D3F300BC 1EF26582
	v_mfma_f32_16x16x32_fp8_fp8 v[188:191], a[132:133], a[52:53], v[188:191]// 000000009A98: D3F300BC 1EF26984
	v_mfma_f32_16x16x32_fp8_fp8 v[188:191], a[134:135], a[54:55], v[188:191]// 000000009AA0: D3F300BC 1EF26D86
	v_mfma_f32_16x16x32_fp8_fp8 v[208:211], a[136:137], a[48:49], v[208:211]// 000000009AA8: D3F300D0 1F426188
	buffer_load_dwordx4 a[108:111], v61, s[24:27], 0 offen offset:1024// 000000009AB0: E05C1400 80866C3D
	v_mfma_f32_16x16x32_fp8_fp8 v[208:211], a[138:139], a[50:51], v[208:211]// 000000009AB8: D3F300D0 1F42658A
	v_mfma_f32_16x16x32_fp8_fp8 v[208:211], a[140:141], a[52:53], v[208:211]// 000000009AC0: D3F300D0 1F42698C
	v_mfma_f32_16x16x32_fp8_fp8 v[208:211], a[142:143], a[54:55], v[208:211]// 000000009AC8: D3F300D0 1F426D8E
	v_mfma_f32_16x16x32_fp8_fp8 v[152:155], a[112:113], a[56:57], v[152:155]// 000000009AD0: D3F30098 1E627170
	v_mfma_f32_16x16x32_fp8_fp8 v[152:155], a[114:115], a[58:59], v[152:155]// 000000009AD8: D3F30098 1E627572
	v_mfma_f32_16x16x32_fp8_fp8 v[152:155], a[116:117], a[60:61], v[152:155]// 000000009AE0: D3F30098 1E627974
	v_mfma_f32_16x16x32_fp8_fp8 v[152:155], a[118:119], a[62:63], v[152:155]// 000000009AE8: D3F30098 1E627D76
	v_mfma_f32_16x16x32_fp8_fp8 v[172:175], a[120:121], a[56:57], v[172:175]// 000000009AF0: D3F300AC 1EB27178
	v_mfma_f32_16x16x32_fp8_fp8 v[172:175], a[122:123], a[58:59], v[172:175]// 000000009AF8: D3F300AC 1EB2757A
	v_mfma_f32_16x16x32_fp8_fp8 v[172:175], a[124:125], a[60:61], v[172:175]// 000000009B00: D3F300AC 1EB2797C
	v_mfma_f32_16x16x32_fp8_fp8 v[172:175], a[126:127], a[62:63], v[172:175]// 000000009B08: D3F300AC 1EB27D7E
	v_mfma_f32_16x16x32_fp8_fp8 v[192:195], a[128:129], a[56:57], v[192:195]// 000000009B10: D3F300C0 1F027180
	v_mfma_f32_16x16x32_fp8_fp8 v[192:195], a[130:131], a[58:59], v[192:195]// 000000009B18: D3F300C0 1F027582
	v_mfma_f32_16x16x32_fp8_fp8 v[192:195], a[132:133], a[60:61], v[192:195]// 000000009B20: D3F300C0 1F027984
	v_mfma_f32_16x16x32_fp8_fp8 v[192:195], a[134:135], a[62:63], v[192:195]// 000000009B28: D3F300C0 1F027D86
	v_mfma_f32_16x16x32_fp8_fp8 v[212:215], a[136:137], a[56:57], v[212:215]// 000000009B30: D3F300D4 1F527188
	v_mfma_f32_16x16x32_fp8_fp8 v[212:215], a[138:139], a[58:59], v[212:215]// 000000009B38: D3F300D4 1F52758A
	v_mfma_f32_16x16x32_fp8_fp8 v[212:215], a[140:141], a[60:61], v[212:215]// 000000009B40: D3F300D4 1F52798C
	v_mfma_f32_16x16x32_fp8_fp8 v[212:215], a[142:143], a[62:63], v[212:215]// 000000009B48: D3F300D4 1F527D8E
	v_mfma_f32_16x16x32_fp8_fp8 v[156:159], a[112:113], a[64:65], v[156:159]// 000000009B50: D3F3009C 1E728170
	v_mfma_f32_16x16x32_fp8_fp8 v[156:159], a[114:115], a[66:67], v[156:159]// 000000009B58: D3F3009C 1E728572
	v_mfma_f32_16x16x32_fp8_fp8 v[156:159], a[116:117], a[68:69], v[156:159]// 000000009B60: D3F3009C 1E728974
	v_mfma_f32_16x16x32_fp8_fp8 v[156:159], a[118:119], a[70:71], v[156:159]// 000000009B68: D3F3009C 1E728D76
	v_mfma_f32_16x16x32_fp8_fp8 v[176:179], a[120:121], a[64:65], v[176:179]// 000000009B70: D3F300B0 1EC28178
	v_mfma_f32_16x16x32_fp8_fp8 v[176:179], a[122:123], a[66:67], v[176:179]// 000000009B78: D3F300B0 1EC2857A
	v_mfma_f32_16x16x32_fp8_fp8 v[176:179], a[124:125], a[68:69], v[176:179]// 000000009B80: D3F300B0 1EC2897C
	v_mfma_f32_16x16x32_fp8_fp8 v[176:179], a[126:127], a[70:71], v[176:179]// 000000009B88: D3F300B0 1EC28D7E
	v_mfma_f32_16x16x32_fp8_fp8 v[196:199], a[128:129], a[64:65], v[196:199]// 000000009B90: D3F300C4 1F128180
	v_mfma_f32_16x16x32_fp8_fp8 v[196:199], a[130:131], a[66:67], v[196:199]// 000000009B98: D3F300C4 1F128582
	v_mfma_f32_16x16x32_fp8_fp8 v[196:199], a[132:133], a[68:69], v[196:199]// 000000009BA0: D3F300C4 1F128984
	v_mfma_f32_16x16x32_fp8_fp8 v[196:199], a[134:135], a[70:71], v[196:199]// 000000009BA8: D3F300C4 1F128D86
	v_mfma_f32_16x16x32_fp8_fp8 v[216:219], a[136:137], a[64:65], v[216:219]// 000000009BB0: D3F300D8 1F628188
	v_mfma_f32_16x16x32_fp8_fp8 v[216:219], a[138:139], a[66:67], v[216:219]// 000000009BB8: D3F300D8 1F62858A
	v_mfma_f32_16x16x32_fp8_fp8 v[216:219], a[140:141], a[68:69], v[216:219]// 000000009BC0: D3F300D8 1F62898C
	v_mfma_f32_16x16x32_fp8_fp8 v[216:219], a[142:143], a[70:71], v[216:219]// 000000009BC8: D3F300D8 1F628D8E
	v_mfma_f32_16x16x32_fp8_fp8 v[160:163], a[112:113], a[72:73], v[160:163]// 000000009BD0: D3F300A0 1E829170
	v_mfma_f32_16x16x32_fp8_fp8 v[160:163], a[114:115], a[74:75], v[160:163]// 000000009BD8: D3F300A0 1E829572
	v_mfma_f32_16x16x32_fp8_fp8 v[160:163], a[116:117], a[76:77], v[160:163]// 000000009BE0: D3F300A0 1E829974
	v_mfma_f32_16x16x32_fp8_fp8 v[160:163], a[118:119], a[78:79], v[160:163]// 000000009BE8: D3F300A0 1E829D76
	v_mfma_f32_16x16x32_fp8_fp8 v[180:183], a[120:121], a[72:73], v[180:183]// 000000009BF0: D3F300B4 1ED29178
	v_mfma_f32_16x16x32_fp8_fp8 v[180:183], a[122:123], a[74:75], v[180:183]// 000000009BF8: D3F300B4 1ED2957A
	v_mfma_f32_16x16x32_fp8_fp8 v[180:183], a[124:125], a[76:77], v[180:183]// 000000009C00: D3F300B4 1ED2997C
	v_mfma_f32_16x16x32_fp8_fp8 v[180:183], a[126:127], a[78:79], v[180:183]// 000000009C08: D3F300B4 1ED29D7E
	v_mfma_f32_16x16x32_fp8_fp8 v[200:203], a[128:129], a[72:73], v[200:203]// 000000009C10: D3F300C8 1F229180
	v_mfma_f32_16x16x32_fp8_fp8 v[200:203], a[130:131], a[74:75], v[200:203]// 000000009C18: D3F300C8 1F229582
	v_mfma_f32_16x16x32_fp8_fp8 v[200:203], a[132:133], a[76:77], v[200:203]// 000000009C20: D3F300C8 1F229984
	s_add_u32 s60, 0x180, s80                                  // 000000009C28: 803C50FF 00000180
	s_cmp_lt_u32 s60, s81                                      // 000000009C30: BF0A513C
	s_cselect_b32 s57, s57, 0                                  // 000000009C34: 85398039
	v_mfma_f32_16x16x32_fp8_fp8 v[200:203], a[134:135], a[78:79], v[200:203]// 000000009C38: D3F300C8 1F229D86
	s_add_u32 s60, 0x100, s80                                  // 000000009C40: 803C50FF 00000100
	s_cmp_lt_u32 s60, s81                                      // 000000009C48: BF0A513C
	s_cselect_b32 s58, s58, 0                                  // 000000009C4C: 853A803A
	v_mfma_f32_16x16x32_fp8_fp8 v[220:223], a[136:137], a[72:73], v[220:223]// 000000009C50: D3F300DC 1F729188
	s_add_u32 s24, s58, s24                                    // 000000009C58: 8018183A
	s_addc_u32 s25, 0, s25                                     // 000000009C5C: 82191980
	v_mfma_f32_16x16x32_fp8_fp8 v[220:223], a[138:139], a[74:75], v[220:223]// 000000009C60: D3F300DC 1F72958A
	s_add_u32 s20, s57, s20                                    // 000000009C68: 80141439
	s_addc_u32 s21, 0, s21                                     // 000000009C6C: 82151580
	v_mfma_f32_16x16x32_fp8_fp8 v[220:223], a[140:141], a[76:77], v[220:223]// 000000009C70: D3F300DC 1F72998C
	s_add_u32 s84, s83, s84                                    // 000000009C78: 80545453
	s_addc_u32 s85, 0, s85                                     // 000000009C7C: 82555580
	v_mfma_f32_16x16x32_fp8_fp8 v[220:223], a[142:143], a[78:79], v[220:223]// 000000009C80: D3F300DC 1F729D8E
	s_addk_i32 s80, 0x80                                       // 000000009C88: B7500080
	s_cmp_lt_i32 s80, s81                                      // 000000009C8C: BF045150
	s_cbranch_scc0 label_1CA9                                  // 000000009C90: BF840001
	s_branch label_193C                                        // 000000009C94: BF82FC93

0000000000009c98 <label_1CA9>:
	v_mul_f32_dpp v64, v24, v64 row_newbcast:0 row_mask:0xf bank_mask:0xf// 000000009C98: 0A8080FA FF015018
	v_mul_f32_dpp v65, v24, v65 row_newbcast:1 row_mask:0xf bank_mask:0xf// 000000009CA0: 0A8282FA FF015118
	v_mul_f32_dpp v66, v24, v66 row_newbcast:2 row_mask:0xf bank_mask:0xf// 000000009CA8: 0A8484FA FF015218
	v_mul_f32_dpp v67, v24, v67 row_newbcast:3 row_mask:0xf bank_mask:0xf// 000000009CB0: 0A8686FA FF015318
	v_mul_f32_dpp v68, v24, v68 row_newbcast:0 row_mask:0xf bank_mask:0xf// 000000009CB8: 0A8888FA FF015018
	v_mul_f32_dpp v69, v24, v69 row_newbcast:1 row_mask:0xf bank_mask:0xf// 000000009CC0: 0A8A8AFA FF015118
	v_mul_f32_dpp v70, v24, v70 row_newbcast:2 row_mask:0xf bank_mask:0xf// 000000009CC8: 0A8C8CFA FF015218
	v_mul_f32_dpp v71, v24, v71 row_newbcast:3 row_mask:0xf bank_mask:0xf// 000000009CD0: 0A8E8EFA FF015318
	v_mul_f32_dpp v72, v24, v72 row_newbcast:0 row_mask:0xf bank_mask:0xf// 000000009CD8: 0A9090FA FF015018
	v_mul_f32_dpp v73, v24, v73 row_newbcast:1 row_mask:0xf bank_mask:0xf// 000000009CE0: 0A9292FA FF015118
	v_mul_f32_dpp v74, v24, v74 row_newbcast:2 row_mask:0xf bank_mask:0xf// 000000009CE8: 0A9494FA FF015218
	v_mul_f32_dpp v75, v24, v75 row_newbcast:3 row_mask:0xf bank_mask:0xf// 000000009CF0: 0A9696FA FF015318
	v_mul_f32_dpp v76, v24, v76 row_newbcast:0 row_mask:0xf bank_mask:0xf// 000000009CF8: 0A9898FA FF015018
	v_mul_f32_dpp v77, v24, v77 row_newbcast:1 row_mask:0xf bank_mask:0xf// 000000009D00: 0A9A9AFA FF015118
	v_mul_f32_dpp v78, v24, v78 row_newbcast:2 row_mask:0xf bank_mask:0xf// 000000009D08: 0A9C9CFA FF015218
	v_mul_f32_dpp v79, v24, v79 row_newbcast:3 row_mask:0xf bank_mask:0xf// 000000009D10: 0A9E9EFA FF015318
	v_mul_f32_dpp v80, v24, v80 row_newbcast:0 row_mask:0xf bank_mask:0xf// 000000009D18: 0AA0A0FA FF015018
	v_mul_f32_dpp v81, v24, v81 row_newbcast:1 row_mask:0xf bank_mask:0xf// 000000009D20: 0AA2A2FA FF015118
	v_mul_f32_dpp v82, v24, v82 row_newbcast:2 row_mask:0xf bank_mask:0xf// 000000009D28: 0AA4A4FA FF015218
	v_mul_f32_dpp v83, v24, v83 row_newbcast:3 row_mask:0xf bank_mask:0xf// 000000009D30: 0AA6A6FA FF015318
	v_mul_f32_dpp v84, v24, v84 row_newbcast:4 row_mask:0xf bank_mask:0xf// 000000009D38: 0AA8A8FA FF015418
	v_mul_f32_dpp v85, v24, v85 row_newbcast:5 row_mask:0xf bank_mask:0xf// 000000009D40: 0AAAAAFA FF015518
	v_mul_f32_dpp v86, v24, v86 row_newbcast:6 row_mask:0xf bank_mask:0xf// 000000009D48: 0AACACFA FF015618
	v_mul_f32_dpp v87, v24, v87 row_newbcast:7 row_mask:0xf bank_mask:0xf// 000000009D50: 0AAEAEFA FF015718
	v_mul_f32_dpp v88, v24, v88 row_newbcast:4 row_mask:0xf bank_mask:0xf// 000000009D58: 0AB0B0FA FF015418
	v_mul_f32_dpp v89, v24, v89 row_newbcast:5 row_mask:0xf bank_mask:0xf// 000000009D60: 0AB2B2FA FF015518
	v_mul_f32_dpp v90, v24, v90 row_newbcast:6 row_mask:0xf bank_mask:0xf// 000000009D68: 0AB4B4FA FF015618
	v_mul_f32_dpp v91, v24, v91 row_newbcast:7 row_mask:0xf bank_mask:0xf// 000000009D70: 0AB6B6FA FF015718
	v_mul_f32_dpp v92, v24, v92 row_newbcast:4 row_mask:0xf bank_mask:0xf// 000000009D78: 0AB8B8FA FF015418
	v_mul_f32_dpp v93, v24, v93 row_newbcast:5 row_mask:0xf bank_mask:0xf// 000000009D80: 0ABABAFA FF015518
	v_mul_f32_dpp v94, v24, v94 row_newbcast:6 row_mask:0xf bank_mask:0xf// 000000009D88: 0ABCBCFA FF015618
	v_mul_f32_dpp v95, v24, v95 row_newbcast:7 row_mask:0xf bank_mask:0xf// 000000009D90: 0ABEBEFA FF015718
	v_mul_f32_dpp v96, v24, v96 row_newbcast:4 row_mask:0xf bank_mask:0xf// 000000009D98: 0AC0C0FA FF015418
	v_mul_f32_dpp v97, v24, v97 row_newbcast:5 row_mask:0xf bank_mask:0xf// 000000009DA0: 0AC2C2FA FF015518
	v_mul_f32_dpp v98, v24, v98 row_newbcast:6 row_mask:0xf bank_mask:0xf// 000000009DA8: 0AC4C4FA FF015618
	v_mul_f32_dpp v99, v24, v99 row_newbcast:7 row_mask:0xf bank_mask:0xf// 000000009DB0: 0AC6C6FA FF015718
	v_mul_f32_dpp v100, v24, v100 row_newbcast:4 row_mask:0xf bank_mask:0xf// 000000009DB8: 0AC8C8FA FF015418
	v_mul_f32_dpp v101, v24, v101 row_newbcast:5 row_mask:0xf bank_mask:0xf// 000000009DC0: 0ACACAFA FF015518
	v_mul_f32_dpp v102, v24, v102 row_newbcast:6 row_mask:0xf bank_mask:0xf// 000000009DC8: 0ACCCCFA FF015618
	v_mul_f32_dpp v103, v24, v103 row_newbcast:7 row_mask:0xf bank_mask:0xf// 000000009DD0: 0ACECEFA FF015718
	v_mul_f32_dpp v104, v24, v104 row_newbcast:8 row_mask:0xf bank_mask:0xf// 000000009DD8: 0AD0D0FA FF015818
	v_mul_f32_dpp v105, v24, v105 row_newbcast:9 row_mask:0xf bank_mask:0xf// 000000009DE0: 0AD2D2FA FF015918
	v_mul_f32_dpp v106, v24, v106 row_newbcast:10 row_mask:0xf bank_mask:0xf// 000000009DE8: 0AD4D4FA FF015A18
	v_mul_f32_dpp v107, v24, v107 row_newbcast:11 row_mask:0xf bank_mask:0xf// 000000009DF0: 0AD6D6FA FF015B18
	v_mul_f32_dpp v108, v24, v108 row_newbcast:8 row_mask:0xf bank_mask:0xf// 000000009DF8: 0AD8D8FA FF015818
	v_mul_f32_dpp v109, v24, v109 row_newbcast:9 row_mask:0xf bank_mask:0xf// 000000009E00: 0ADADAFA FF015918
	v_mul_f32_dpp v110, v24, v110 row_newbcast:10 row_mask:0xf bank_mask:0xf// 000000009E08: 0ADCDCFA FF015A18
	v_mul_f32_dpp v111, v24, v111 row_newbcast:11 row_mask:0xf bank_mask:0xf// 000000009E10: 0ADEDEFA FF015B18
	v_mul_f32_dpp v112, v24, v112 row_newbcast:8 row_mask:0xf bank_mask:0xf// 000000009E18: 0AE0E0FA FF015818
	v_mul_f32_dpp v113, v24, v113 row_newbcast:9 row_mask:0xf bank_mask:0xf// 000000009E20: 0AE2E2FA FF015918
	v_mul_f32_dpp v114, v24, v114 row_newbcast:10 row_mask:0xf bank_mask:0xf// 000000009E28: 0AE4E4FA FF015A18
	v_mul_f32_dpp v115, v24, v115 row_newbcast:11 row_mask:0xf bank_mask:0xf// 000000009E30: 0AE6E6FA FF015B18
	v_mul_f32_dpp v116, v24, v116 row_newbcast:8 row_mask:0xf bank_mask:0xf// 000000009E38: 0AE8E8FA FF015818
	v_mul_f32_dpp v117, v24, v117 row_newbcast:9 row_mask:0xf bank_mask:0xf// 000000009E40: 0AEAEAFA FF015918
	v_mul_f32_dpp v118, v24, v118 row_newbcast:10 row_mask:0xf bank_mask:0xf// 000000009E48: 0AECECFA FF015A18
	v_mul_f32_dpp v119, v24, v119 row_newbcast:11 row_mask:0xf bank_mask:0xf// 000000009E50: 0AEEEEFA FF015B18
	v_mul_f32_dpp v120, v24, v120 row_newbcast:8 row_mask:0xf bank_mask:0xf// 000000009E58: 0AF0F0FA FF015818
	v_mul_f32_dpp v121, v24, v121 row_newbcast:9 row_mask:0xf bank_mask:0xf// 000000009E60: 0AF2F2FA FF015918
	v_mul_f32_dpp v122, v24, v122 row_newbcast:10 row_mask:0xf bank_mask:0xf// 000000009E68: 0AF4F4FA FF015A18
	v_mul_f32_dpp v123, v24, v123 row_newbcast:11 row_mask:0xf bank_mask:0xf// 000000009E70: 0AF6F6FA FF015B18
	v_mul_f32_dpp v124, v24, v124 row_newbcast:12 row_mask:0xf bank_mask:0xf// 000000009E78: 0AF8F8FA FF015C18
	v_mul_f32_dpp v125, v24, v125 row_newbcast:13 row_mask:0xf bank_mask:0xf// 000000009E80: 0AFAFAFA FF015D18
	v_mul_f32_dpp v126, v24, v126 row_newbcast:14 row_mask:0xf bank_mask:0xf// 000000009E88: 0AFCFCFA FF015E18
	v_mul_f32_dpp v127, v24, v127 row_newbcast:15 row_mask:0xf bank_mask:0xf// 000000009E90: 0AFEFEFA FF015F18
	v_mul_f32_dpp v128, v24, v128 row_newbcast:12 row_mask:0xf bank_mask:0xf// 000000009E98: 0B0100FA FF015C18
	v_mul_f32_dpp v129, v24, v129 row_newbcast:13 row_mask:0xf bank_mask:0xf// 000000009EA0: 0B0302FA FF015D18
	v_mul_f32_dpp v130, v24, v130 row_newbcast:14 row_mask:0xf bank_mask:0xf// 000000009EA8: 0B0504FA FF015E18
	v_mul_f32_dpp v131, v24, v131 row_newbcast:15 row_mask:0xf bank_mask:0xf// 000000009EB0: 0B0706FA FF015F18
	v_mul_f32_dpp v132, v24, v132 row_newbcast:12 row_mask:0xf bank_mask:0xf// 000000009EB8: 0B0908FA FF015C18
	v_mul_f32_dpp v133, v24, v133 row_newbcast:13 row_mask:0xf bank_mask:0xf// 000000009EC0: 0B0B0AFA FF015D18
	v_mul_f32_dpp v134, v24, v134 row_newbcast:14 row_mask:0xf bank_mask:0xf// 000000009EC8: 0B0D0CFA FF015E18
	v_mul_f32_dpp v135, v24, v135 row_newbcast:15 row_mask:0xf bank_mask:0xf// 000000009ED0: 0B0F0EFA FF015F18
	v_mul_f32_dpp v136, v24, v136 row_newbcast:12 row_mask:0xf bank_mask:0xf// 000000009ED8: 0B1110FA FF015C18
	v_mul_f32_dpp v137, v24, v137 row_newbcast:13 row_mask:0xf bank_mask:0xf// 000000009EE0: 0B1312FA FF015D18
	v_mul_f32_dpp v138, v24, v138 row_newbcast:14 row_mask:0xf bank_mask:0xf// 000000009EE8: 0B1514FA FF015E18
	v_mul_f32_dpp v139, v24, v139 row_newbcast:15 row_mask:0xf bank_mask:0xf// 000000009EF0: 0B1716FA FF015F18
	v_mul_f32_dpp v140, v24, v140 row_newbcast:12 row_mask:0xf bank_mask:0xf// 000000009EF8: 0B1918FA FF015C18
	v_mul_f32_dpp v141, v24, v141 row_newbcast:13 row_mask:0xf bank_mask:0xf// 000000009F00: 0B1B1AFA FF015D18
	v_mul_f32_dpp v142, v24, v142 row_newbcast:14 row_mask:0xf bank_mask:0xf// 000000009F08: 0B1D1CFA FF015E18
	v_mul_f32_dpp v143, v24, v143 row_newbcast:15 row_mask:0xf bank_mask:0xf// 000000009F10: 0B1F1EFA FF015F18
	v_mul_f32_dpp v144, v26, v144 row_newbcast:0 row_mask:0xf bank_mask:0xf// 000000009F18: 0B2120FA FF01501A
	v_mul_f32_dpp v145, v26, v145 row_newbcast:1 row_mask:0xf bank_mask:0xf// 000000009F20: 0B2322FA FF01511A
	v_mul_f32_dpp v146, v26, v146 row_newbcast:2 row_mask:0xf bank_mask:0xf// 000000009F28: 0B2524FA FF01521A
	v_mul_f32_dpp v147, v26, v147 row_newbcast:3 row_mask:0xf bank_mask:0xf// 000000009F30: 0B2726FA FF01531A
	v_mul_f32_dpp v148, v26, v148 row_newbcast:0 row_mask:0xf bank_mask:0xf// 000000009F38: 0B2928FA FF01501A
	v_mul_f32_dpp v149, v26, v149 row_newbcast:1 row_mask:0xf bank_mask:0xf// 000000009F40: 0B2B2AFA FF01511A
	v_mul_f32_dpp v150, v26, v150 row_newbcast:2 row_mask:0xf bank_mask:0xf// 000000009F48: 0B2D2CFA FF01521A
	v_mul_f32_dpp v151, v26, v151 row_newbcast:3 row_mask:0xf bank_mask:0xf// 000000009F50: 0B2F2EFA FF01531A
	v_mul_f32_dpp v152, v26, v152 row_newbcast:0 row_mask:0xf bank_mask:0xf// 000000009F58: 0B3130FA FF01501A
	v_mul_f32_dpp v153, v26, v153 row_newbcast:1 row_mask:0xf bank_mask:0xf// 000000009F60: 0B3332FA FF01511A
	v_mul_f32_dpp v154, v26, v154 row_newbcast:2 row_mask:0xf bank_mask:0xf// 000000009F68: 0B3534FA FF01521A
	v_mul_f32_dpp v155, v26, v155 row_newbcast:3 row_mask:0xf bank_mask:0xf// 000000009F70: 0B3736FA FF01531A
	v_mul_f32_dpp v156, v26, v156 row_newbcast:0 row_mask:0xf bank_mask:0xf// 000000009F78: 0B3938FA FF01501A
	v_mul_f32_dpp v157, v26, v157 row_newbcast:1 row_mask:0xf bank_mask:0xf// 000000009F80: 0B3B3AFA FF01511A
	v_mul_f32_dpp v158, v26, v158 row_newbcast:2 row_mask:0xf bank_mask:0xf// 000000009F88: 0B3D3CFA FF01521A
	v_mul_f32_dpp v159, v26, v159 row_newbcast:3 row_mask:0xf bank_mask:0xf// 000000009F90: 0B3F3EFA FF01531A
	v_mul_f32_dpp v160, v26, v160 row_newbcast:0 row_mask:0xf bank_mask:0xf// 000000009F98: 0B4140FA FF01501A
	v_mul_f32_dpp v161, v26, v161 row_newbcast:1 row_mask:0xf bank_mask:0xf// 000000009FA0: 0B4342FA FF01511A
	v_mul_f32_dpp v162, v26, v162 row_newbcast:2 row_mask:0xf bank_mask:0xf// 000000009FA8: 0B4544FA FF01521A
	v_mul_f32_dpp v163, v26, v163 row_newbcast:3 row_mask:0xf bank_mask:0xf// 000000009FB0: 0B4746FA FF01531A
	v_mul_f32_dpp v164, v26, v164 row_newbcast:4 row_mask:0xf bank_mask:0xf// 000000009FB8: 0B4948FA FF01541A
	v_mul_f32_dpp v165, v26, v165 row_newbcast:5 row_mask:0xf bank_mask:0xf// 000000009FC0: 0B4B4AFA FF01551A
	v_mul_f32_dpp v166, v26, v166 row_newbcast:6 row_mask:0xf bank_mask:0xf// 000000009FC8: 0B4D4CFA FF01561A
	v_mul_f32_dpp v167, v26, v167 row_newbcast:7 row_mask:0xf bank_mask:0xf// 000000009FD0: 0B4F4EFA FF01571A
	v_mul_f32_dpp v168, v26, v168 row_newbcast:4 row_mask:0xf bank_mask:0xf// 000000009FD8: 0B5150FA FF01541A
	v_mul_f32_dpp v169, v26, v169 row_newbcast:5 row_mask:0xf bank_mask:0xf// 000000009FE0: 0B5352FA FF01551A
	v_mul_f32_dpp v170, v26, v170 row_newbcast:6 row_mask:0xf bank_mask:0xf// 000000009FE8: 0B5554FA FF01561A
	v_mul_f32_dpp v171, v26, v171 row_newbcast:7 row_mask:0xf bank_mask:0xf// 000000009FF0: 0B5756FA FF01571A
	v_mul_f32_dpp v172, v26, v172 row_newbcast:4 row_mask:0xf bank_mask:0xf// 000000009FF8: 0B5958FA FF01541A
	v_mul_f32_dpp v173, v26, v173 row_newbcast:5 row_mask:0xf bank_mask:0xf// 00000000A000: 0B5B5AFA FF01551A
	v_mul_f32_dpp v174, v26, v174 row_newbcast:6 row_mask:0xf bank_mask:0xf// 00000000A008: 0B5D5CFA FF01561A
	v_mul_f32_dpp v175, v26, v175 row_newbcast:7 row_mask:0xf bank_mask:0xf// 00000000A010: 0B5F5EFA FF01571A
	v_mul_f32_dpp v176, v26, v176 row_newbcast:4 row_mask:0xf bank_mask:0xf// 00000000A018: 0B6160FA FF01541A
	v_mul_f32_dpp v177, v26, v177 row_newbcast:5 row_mask:0xf bank_mask:0xf// 00000000A020: 0B6362FA FF01551A
	v_mul_f32_dpp v178, v26, v178 row_newbcast:6 row_mask:0xf bank_mask:0xf// 00000000A028: 0B6564FA FF01561A
	v_mul_f32_dpp v179, v26, v179 row_newbcast:7 row_mask:0xf bank_mask:0xf// 00000000A030: 0B6766FA FF01571A
	v_mul_f32_dpp v180, v26, v180 row_newbcast:4 row_mask:0xf bank_mask:0xf// 00000000A038: 0B6968FA FF01541A
	v_mul_f32_dpp v181, v26, v181 row_newbcast:5 row_mask:0xf bank_mask:0xf// 00000000A040: 0B6B6AFA FF01551A
	v_mul_f32_dpp v182, v26, v182 row_newbcast:6 row_mask:0xf bank_mask:0xf// 00000000A048: 0B6D6CFA FF01561A
	v_mul_f32_dpp v183, v26, v183 row_newbcast:7 row_mask:0xf bank_mask:0xf// 00000000A050: 0B6F6EFA FF01571A
	v_mul_f32_dpp v184, v26, v184 row_newbcast:8 row_mask:0xf bank_mask:0xf// 00000000A058: 0B7170FA FF01581A
	v_mul_f32_dpp v185, v26, v185 row_newbcast:9 row_mask:0xf bank_mask:0xf// 00000000A060: 0B7372FA FF01591A
	v_mul_f32_dpp v186, v26, v186 row_newbcast:10 row_mask:0xf bank_mask:0xf// 00000000A068: 0B7574FA FF015A1A
	v_mul_f32_dpp v187, v26, v187 row_newbcast:11 row_mask:0xf bank_mask:0xf// 00000000A070: 0B7776FA FF015B1A
	v_mul_f32_dpp v188, v26, v188 row_newbcast:8 row_mask:0xf bank_mask:0xf// 00000000A078: 0B7978FA FF01581A
	v_mul_f32_dpp v189, v26, v189 row_newbcast:9 row_mask:0xf bank_mask:0xf// 00000000A080: 0B7B7AFA FF01591A
	v_mul_f32_dpp v190, v26, v190 row_newbcast:10 row_mask:0xf bank_mask:0xf// 00000000A088: 0B7D7CFA FF015A1A
	v_mul_f32_dpp v191, v26, v191 row_newbcast:11 row_mask:0xf bank_mask:0xf// 00000000A090: 0B7F7EFA FF015B1A
	v_mul_f32_dpp v192, v26, v192 row_newbcast:8 row_mask:0xf bank_mask:0xf// 00000000A098: 0B8180FA FF01581A
	v_mul_f32_dpp v193, v26, v193 row_newbcast:9 row_mask:0xf bank_mask:0xf// 00000000A0A0: 0B8382FA FF01591A
	v_mul_f32_dpp v194, v26, v194 row_newbcast:10 row_mask:0xf bank_mask:0xf// 00000000A0A8: 0B8584FA FF015A1A
	v_mul_f32_dpp v195, v26, v195 row_newbcast:11 row_mask:0xf bank_mask:0xf// 00000000A0B0: 0B8786FA FF015B1A
	v_mul_f32_dpp v196, v26, v196 row_newbcast:8 row_mask:0xf bank_mask:0xf// 00000000A0B8: 0B8988FA FF01581A
	v_mul_f32_dpp v197, v26, v197 row_newbcast:9 row_mask:0xf bank_mask:0xf// 00000000A0C0: 0B8B8AFA FF01591A
	v_mul_f32_dpp v198, v26, v198 row_newbcast:10 row_mask:0xf bank_mask:0xf// 00000000A0C8: 0B8D8CFA FF015A1A
	v_mul_f32_dpp v199, v26, v199 row_newbcast:11 row_mask:0xf bank_mask:0xf// 00000000A0D0: 0B8F8EFA FF015B1A
	v_mul_f32_dpp v200, v26, v200 row_newbcast:8 row_mask:0xf bank_mask:0xf// 00000000A0D8: 0B9190FA FF01581A
	v_mul_f32_dpp v201, v26, v201 row_newbcast:9 row_mask:0xf bank_mask:0xf// 00000000A0E0: 0B9392FA FF01591A
	v_mul_f32_dpp v202, v26, v202 row_newbcast:10 row_mask:0xf bank_mask:0xf// 00000000A0E8: 0B9594FA FF015A1A
	v_mul_f32_dpp v203, v26, v203 row_newbcast:11 row_mask:0xf bank_mask:0xf// 00000000A0F0: 0B9796FA FF015B1A
	v_mul_f32_dpp v204, v26, v204 row_newbcast:12 row_mask:0xf bank_mask:0xf// 00000000A0F8: 0B9998FA FF015C1A
	v_mul_f32_dpp v205, v26, v205 row_newbcast:13 row_mask:0xf bank_mask:0xf// 00000000A100: 0B9B9AFA FF015D1A
	v_mul_f32_dpp v206, v26, v206 row_newbcast:14 row_mask:0xf bank_mask:0xf// 00000000A108: 0B9D9CFA FF015E1A
	v_mul_f32_dpp v207, v26, v207 row_newbcast:15 row_mask:0xf bank_mask:0xf// 00000000A110: 0B9F9EFA FF015F1A
	v_mul_f32_dpp v208, v26, v208 row_newbcast:12 row_mask:0xf bank_mask:0xf// 00000000A118: 0BA1A0FA FF015C1A
	v_mul_f32_dpp v209, v26, v209 row_newbcast:13 row_mask:0xf bank_mask:0xf// 00000000A120: 0BA3A2FA FF015D1A
	v_mul_f32_dpp v210, v26, v210 row_newbcast:14 row_mask:0xf bank_mask:0xf// 00000000A128: 0BA5A4FA FF015E1A
	v_mul_f32_dpp v211, v26, v211 row_newbcast:15 row_mask:0xf bank_mask:0xf// 00000000A130: 0BA7A6FA FF015F1A
	v_mul_f32_dpp v212, v26, v212 row_newbcast:12 row_mask:0xf bank_mask:0xf// 00000000A138: 0BA9A8FA FF015C1A
	v_mul_f32_dpp v213, v26, v213 row_newbcast:13 row_mask:0xf bank_mask:0xf// 00000000A140: 0BABAAFA FF015D1A
	v_mul_f32_dpp v214, v26, v214 row_newbcast:14 row_mask:0xf bank_mask:0xf// 00000000A148: 0BADACFA FF015E1A
	v_mul_f32_dpp v215, v26, v215 row_newbcast:15 row_mask:0xf bank_mask:0xf// 00000000A150: 0BAFAEFA FF015F1A
	v_mul_f32_dpp v216, v26, v216 row_newbcast:12 row_mask:0xf bank_mask:0xf// 00000000A158: 0BB1B0FA FF015C1A
	v_mul_f32_dpp v217, v26, v217 row_newbcast:13 row_mask:0xf bank_mask:0xf// 00000000A160: 0BB3B2FA FF015D1A
	v_mul_f32_dpp v218, v26, v218 row_newbcast:14 row_mask:0xf bank_mask:0xf// 00000000A168: 0BB5B4FA FF015E1A
	v_mul_f32_dpp v219, v26, v219 row_newbcast:15 row_mask:0xf bank_mask:0xf// 00000000A170: 0BB7B6FA FF015F1A
	v_mul_f32_dpp v220, v26, v220 row_newbcast:12 row_mask:0xf bank_mask:0xf// 00000000A178: 0BB9B8FA FF015C1A
	v_mul_f32_dpp v221, v26, v221 row_newbcast:13 row_mask:0xf bank_mask:0xf// 00000000A180: 0BBBBAFA FF015D1A
	v_mul_f32_dpp v222, v26, v222 row_newbcast:14 row_mask:0xf bank_mask:0xf// 00000000A188: 0BBDBCFA FF015E1A
	v_mul_f32_dpp v223, v26, v223 row_newbcast:15 row_mask:0xf bank_mask:0xf// 00000000A190: 0BBFBEFA FF015F1A
	v_mov_b32_e32 v4, v33                                      // 00000000A198: 7E080321
	v_mov_b32_e32 v5, v4                                       // 00000000A19C: 7E0A0304
	v_pk_mul_f32 v[64:65], v[4:5], v[64:65]                    // 00000000A1A0: D3B14040 18028104
	v_pk_mul_f32 v[144:145], v[4:5], v[144:145]                // 00000000A1A8: D3B14090 18032104
	v_pk_mul_f32 v[66:67], v[4:5], v[66:67]                    // 00000000A1B0: D3B14042 18028504
	v_pk_mul_f32 v[146:147], v[4:5], v[146:147]                // 00000000A1B8: D3B14092 18032504
	v_pk_mul_f32 v[84:85], v[4:5], v[84:85]                    // 00000000A1C0: D3B14054 1802A904
	v_pk_mul_f32 v[164:165], v[4:5], v[164:165]                // 00000000A1C8: D3B140A4 18034904
	v_pk_mul_f32 v[86:87], v[4:5], v[86:87]                    // 00000000A1D0: D3B14056 1802AD04
	v_pk_mul_f32 v[166:167], v[4:5], v[166:167]                // 00000000A1D8: D3B140A6 18034D04
	v_pk_mul_f32 v[104:105], v[4:5], v[104:105]                // 00000000A1E0: D3B14068 1802D104
	v_pk_mul_f32 v[184:185], v[4:5], v[184:185]                // 00000000A1E8: D3B140B8 18037104
	v_pk_mul_f32 v[106:107], v[4:5], v[106:107]                // 00000000A1F0: D3B1406A 1802D504
	v_pk_mul_f32 v[186:187], v[4:5], v[186:187]                // 00000000A1F8: D3B140BA 18037504
	v_pk_mul_f32 v[124:125], v[4:5], v[124:125]                // 00000000A200: D3B1407C 1802F904
	v_pk_mul_f32 v[204:205], v[4:5], v[204:205]                // 00000000A208: D3B140CC 18039904
	v_pk_mul_f32 v[126:127], v[4:5], v[126:127]                // 00000000A210: D3B1407E 1802FD04
	v_pk_mul_f32 v[206:207], v[4:5], v[206:207]                // 00000000A218: D3B140CE 18039D04
	v_mov_b32_e32 v4, v34                                      // 00000000A220: 7E080322
	v_mov_b32_e32 v5, v4                                       // 00000000A224: 7E0A0304
	v_pk_mul_f32 v[68:69], v[4:5], v[68:69]                    // 00000000A228: D3B14044 18028904
	v_pk_mul_f32 v[148:149], v[4:5], v[148:149]                // 00000000A230: D3B14094 18032904
	v_pk_mul_f32 v[70:71], v[4:5], v[70:71]                    // 00000000A238: D3B14046 18028D04
	v_pk_mul_f32 v[150:151], v[4:5], v[150:151]                // 00000000A240: D3B14096 18032D04
	v_pk_mul_f32 v[88:89], v[4:5], v[88:89]                    // 00000000A248: D3B14058 1802B104
	v_pk_mul_f32 v[168:169], v[4:5], v[168:169]                // 00000000A250: D3B140A8 18035104
	v_pk_mul_f32 v[90:91], v[4:5], v[90:91]                    // 00000000A258: D3B1405A 1802B504
	v_pk_mul_f32 v[170:171], v[4:5], v[170:171]                // 00000000A260: D3B140AA 18035504
	v_pk_mul_f32 v[108:109], v[4:5], v[108:109]                // 00000000A268: D3B1406C 1802D904
	v_pk_mul_f32 v[188:189], v[4:5], v[188:189]                // 00000000A270: D3B140BC 18037904
	v_pk_mul_f32 v[110:111], v[4:5], v[110:111]                // 00000000A278: D3B1406E 1802DD04
	v_pk_mul_f32 v[190:191], v[4:5], v[190:191]                // 00000000A280: D3B140BE 18037D04
	v_pk_mul_f32 v[128:129], v[4:5], v[128:129]                // 00000000A288: D3B14080 18030104
	v_pk_mul_f32 v[208:209], v[4:5], v[208:209]                // 00000000A290: D3B140D0 1803A104
	v_pk_mul_f32 v[130:131], v[4:5], v[130:131]                // 00000000A298: D3B14082 18030504
	v_pk_mul_f32 v[210:211], v[4:5], v[210:211]                // 00000000A2A0: D3B140D2 1803A504
	v_mov_b32_e32 v4, v35                                      // 00000000A2A8: 7E080323
	v_mov_b32_e32 v5, v4                                       // 00000000A2AC: 7E0A0304
	v_pk_mul_f32 v[72:73], v[4:5], v[72:73]                    // 00000000A2B0: D3B14048 18029104
	v_pk_mul_f32 v[152:153], v[4:5], v[152:153]                // 00000000A2B8: D3B14098 18033104
	v_pk_mul_f32 v[74:75], v[4:5], v[74:75]                    // 00000000A2C0: D3B1404A 18029504
	v_pk_mul_f32 v[154:155], v[4:5], v[154:155]                // 00000000A2C8: D3B1409A 18033504
	v_pk_mul_f32 v[92:93], v[4:5], v[92:93]                    // 00000000A2D0: D3B1405C 1802B904
	v_pk_mul_f32 v[172:173], v[4:5], v[172:173]                // 00000000A2D8: D3B140AC 18035904
	v_pk_mul_f32 v[94:95], v[4:5], v[94:95]                    // 00000000A2E0: D3B1405E 1802BD04
	v_pk_mul_f32 v[174:175], v[4:5], v[174:175]                // 00000000A2E8: D3B140AE 18035D04
	v_pk_mul_f32 v[112:113], v[4:5], v[112:113]                // 00000000A2F0: D3B14070 1802E104
	v_pk_mul_f32 v[192:193], v[4:5], v[192:193]                // 00000000A2F8: D3B140C0 18038104
	v_pk_mul_f32 v[114:115], v[4:5], v[114:115]                // 00000000A300: D3B14072 1802E504
	v_pk_mul_f32 v[194:195], v[4:5], v[194:195]                // 00000000A308: D3B140C2 18038504
	v_pk_mul_f32 v[132:133], v[4:5], v[132:133]                // 00000000A310: D3B14084 18030904
	v_pk_mul_f32 v[212:213], v[4:5], v[212:213]                // 00000000A318: D3B140D4 1803A904
	v_pk_mul_f32 v[134:135], v[4:5], v[134:135]                // 00000000A320: D3B14086 18030D04
	v_pk_mul_f32 v[214:215], v[4:5], v[214:215]                // 00000000A328: D3B140D6 1803AD04
	v_mov_b32_e32 v4, v36                                      // 00000000A330: 7E080324
	v_mov_b32_e32 v5, v4                                       // 00000000A334: 7E0A0304
	v_pk_mul_f32 v[76:77], v[4:5], v[76:77]                    // 00000000A338: D3B1404C 18029904
	v_pk_mul_f32 v[156:157], v[4:5], v[156:157]                // 00000000A340: D3B1409C 18033904
	v_pk_mul_f32 v[78:79], v[4:5], v[78:79]                    // 00000000A348: D3B1404E 18029D04
	v_pk_mul_f32 v[158:159], v[4:5], v[158:159]                // 00000000A350: D3B1409E 18033D04
	v_pk_mul_f32 v[96:97], v[4:5], v[96:97]                    // 00000000A358: D3B14060 1802C104
	v_pk_mul_f32 v[176:177], v[4:5], v[176:177]                // 00000000A360: D3B140B0 18036104
	v_pk_mul_f32 v[98:99], v[4:5], v[98:99]                    // 00000000A368: D3B14062 1802C504
	v_pk_mul_f32 v[178:179], v[4:5], v[178:179]                // 00000000A370: D3B140B2 18036504
	v_pk_mul_f32 v[116:117], v[4:5], v[116:117]                // 00000000A378: D3B14074 1802E904
	v_pk_mul_f32 v[196:197], v[4:5], v[196:197]                // 00000000A380: D3B140C4 18038904
	v_pk_mul_f32 v[118:119], v[4:5], v[118:119]                // 00000000A388: D3B14076 1802ED04
	v_pk_mul_f32 v[198:199], v[4:5], v[198:199]                // 00000000A390: D3B140C6 18038D04
	v_pk_mul_f32 v[136:137], v[4:5], v[136:137]                // 00000000A398: D3B14088 18031104
	v_pk_mul_f32 v[216:217], v[4:5], v[216:217]                // 00000000A3A0: D3B140D8 1803B104
	v_pk_mul_f32 v[138:139], v[4:5], v[138:139]                // 00000000A3A8: D3B1408A 18031504
	v_pk_mul_f32 v[218:219], v[4:5], v[218:219]                // 00000000A3B0: D3B140DA 1803B504
	v_mov_b32_e32 v4, v37                                      // 00000000A3B8: 7E080325
	v_mov_b32_e32 v5, v4                                       // 00000000A3BC: 7E0A0304
	v_pk_mul_f32 v[80:81], v[4:5], v[80:81]                    // 00000000A3C0: D3B14050 1802A104
	v_pk_mul_f32 v[160:161], v[4:5], v[160:161]                // 00000000A3C8: D3B140A0 18034104
	v_pk_mul_f32 v[82:83], v[4:5], v[82:83]                    // 00000000A3D0: D3B14052 1802A504
	v_pk_mul_f32 v[162:163], v[4:5], v[162:163]                // 00000000A3D8: D3B140A2 18034504
	v_pk_mul_f32 v[100:101], v[4:5], v[100:101]                // 00000000A3E0: D3B14064 1802C904
	v_pk_mul_f32 v[180:181], v[4:5], v[180:181]                // 00000000A3E8: D3B140B4 18036904
	v_pk_mul_f32 v[102:103], v[4:5], v[102:103]                // 00000000A3F0: D3B14066 1802CD04
	v_pk_mul_f32 v[182:183], v[4:5], v[182:183]                // 00000000A3F8: D3B140B6 18036D04
	v_pk_mul_f32 v[120:121], v[4:5], v[120:121]                // 00000000A400: D3B14078 1802F104
	v_pk_mul_f32 v[200:201], v[4:5], v[200:201]                // 00000000A408: D3B140C8 18039104
	v_pk_mul_f32 v[122:123], v[4:5], v[122:123]                // 00000000A410: D3B1407A 1802F504
	v_pk_mul_f32 v[202:203], v[4:5], v[202:203]                // 00000000A418: D3B140CA 18039504
	v_pk_mul_f32 v[140:141], v[4:5], v[140:141]                // 00000000A420: D3B1408C 18031904
	v_pk_mul_f32 v[220:221], v[4:5], v[220:221]                // 00000000A428: D3B140DC 1803B904
	v_pk_mul_f32 v[142:143], v[4:5], v[142:143]                // 00000000A430: D3B1408E 18031D04
	v_pk_mul_f32 v[222:223], v[4:5], v[222:223]                // 00000000A438: D3B140DE 1803BD04
	s_cmp_eq_u32 s88, 0                                        // 00000000A440: BF068058
	s_cbranch_scc0 label_28CA                                  // 00000000A444: BF840A35
	s_cmp_eq_u32 s89, 0                                        // 00000000A448: BF068059
	s_cbranch_scc1 label_21BC                                  // 00000000A44C: BF850325
	v_mov_b32_e32 v8, v1                                       // 00000000A450: 7E100301
	v_mov_b32_e32 v9, v1                                       // 00000000A454: 7E120301
	s_mov_b32 s60, s6                                          // 00000000A458: BEBC0006
	s_mov_b32 s61, s6                                          // 00000000A45C: BEBD0006
	v_pk_mul_f32 v[4:5], v[64:65], v[64:65]                    // 00000000A460: D3B14004 18028140
	v_pk_mul_f32 v[6:7], v[66:67], v[66:67]                    // 00000000A468: D3B14006 18028542
	v_pk_fma_f32 v[4:5], v[4:5], s[78:79], v[8:9]              // 00000000A470: D3B04004 1C209D04
	v_pk_fma_f32 v[6:7], v[6:7], s[78:79], v[8:9]              // 00000000A478: D3B04006 1C209D06
	v_pk_mul_f32 v[4:5], v[4:5], v[64:65]                      // 00000000A480: D3B14004 18028104
	v_pk_mul_f32 v[6:7], v[6:7], v[66:67]                      // 00000000A488: D3B14006 18028506
	v_pk_mul_f32 v[4:5], v[4:5], s[60:61]                      // 00000000A490: D3B14004 18007904
	v_pk_mul_f32 v[6:7], v[6:7], s[60:61]                      // 00000000A498: D3B14006 18007906
	v_exp_f32_e32 v4, v4                                       // 00000000A4A0: 7E084104
	v_exp_f32_e32 v5, v5                                       // 00000000A4A4: 7E0A4105
	v_exp_f32_e32 v6, v6                                       // 00000000A4A8: 7E0C4106
	v_exp_f32_e32 v7, v7                                       // 00000000A4AC: 7E0E4107
	v_add_f32_e64 v4, v4, 1.0                                  // 00000000A4B0: D1010004 0001E504
	v_add_f32_e64 v5, v5, 1.0                                  // 00000000A4B8: D1010005 0001E505
	v_add_f32_e64 v6, v6, 1.0                                  // 00000000A4C0: D1010006 0001E506
	v_add_f32_e64 v7, v7, 1.0                                  // 00000000A4C8: D1010007 0001E507
	v_rcp_f32_e32 v4, v4                                       // 00000000A4D0: 7E084504
	v_rcp_f32_e32 v5, v5                                       // 00000000A4D4: 7E0A4505
	v_rcp_f32_e32 v6, v6                                       // 00000000A4D8: 7E0C4506
	v_rcp_f32_e32 v7, v7                                       // 00000000A4DC: 7E0E4507
	v_mul_f32_e32 v64, v64, v4                                 // 00000000A4E0: 0A800940
	v_mul_f32_e32 v65, v65, v5                                 // 00000000A4E4: 0A820B41
	v_mul_f32_e32 v66, v66, v6                                 // 00000000A4E8: 0A840D42
	v_mul_f32_e32 v67, v67, v7                                 // 00000000A4EC: 0A860F43
	v_mul_f32_e32 v64, v64, v144                               // 00000000A4F0: 0A812140
	v_mul_f32_e32 v65, v65, v145                               // 00000000A4F4: 0A832341
	v_mul_f32_e32 v66, v66, v146                               // 00000000A4F8: 0A852542
	v_mul_f32_e32 v67, v67, v147                               // 00000000A4FC: 0A872743
	v_pk_mul_f32 v[4:5], v[68:69], v[68:69]                    // 00000000A500: D3B14004 18028944
	v_pk_mul_f32 v[6:7], v[70:71], v[70:71]                    // 00000000A508: D3B14006 18028D46
	v_pk_fma_f32 v[4:5], v[4:5], s[78:79], v[8:9]              // 00000000A510: D3B04004 1C209D04
	v_pk_fma_f32 v[6:7], v[6:7], s[78:79], v[8:9]              // 00000000A518: D3B04006 1C209D06
	v_pk_mul_f32 v[4:5], v[4:5], v[68:69]                      // 00000000A520: D3B14004 18028904
	v_pk_mul_f32 v[6:7], v[6:7], v[70:71]                      // 00000000A528: D3B14006 18028D06
	v_pk_mul_f32 v[4:5], v[4:5], s[60:61]                      // 00000000A530: D3B14004 18007904
	v_pk_mul_f32 v[6:7], v[6:7], s[60:61]                      // 00000000A538: D3B14006 18007906
	v_exp_f32_e32 v4, v4                                       // 00000000A540: 7E084104
	v_exp_f32_e32 v5, v5                                       // 00000000A544: 7E0A4105
	v_exp_f32_e32 v6, v6                                       // 00000000A548: 7E0C4106
	v_exp_f32_e32 v7, v7                                       // 00000000A54C: 7E0E4107
	v_add_f32_e64 v4, v4, 1.0                                  // 00000000A550: D1010004 0001E504
	v_add_f32_e64 v5, v5, 1.0                                  // 00000000A558: D1010005 0001E505
	v_add_f32_e64 v6, v6, 1.0                                  // 00000000A560: D1010006 0001E506
	v_add_f32_e64 v7, v7, 1.0                                  // 00000000A568: D1010007 0001E507
	v_rcp_f32_e32 v4, v4                                       // 00000000A570: 7E084504
	v_rcp_f32_e32 v5, v5                                       // 00000000A574: 7E0A4505
	v_rcp_f32_e32 v6, v6                                       // 00000000A578: 7E0C4506
	v_rcp_f32_e32 v7, v7                                       // 00000000A57C: 7E0E4507
	v_mul_f32_e32 v68, v68, v4                                 // 00000000A580: 0A880944
	v_mul_f32_e32 v69, v69, v5                                 // 00000000A584: 0A8A0B45
	v_mul_f32_e32 v70, v70, v6                                 // 00000000A588: 0A8C0D46
	v_mul_f32_e32 v71, v71, v7                                 // 00000000A58C: 0A8E0F47
	v_mul_f32_e32 v68, v68, v148                               // 00000000A590: 0A892944
	v_mul_f32_e32 v69, v69, v149                               // 00000000A594: 0A8B2B45
	v_mul_f32_e32 v70, v70, v150                               // 00000000A598: 0A8D2D46
	v_mul_f32_e32 v71, v71, v151                               // 00000000A59C: 0A8F2F47
	v_pk_mul_f32 v[4:5], v[72:73], v[72:73]                    // 00000000A5A0: D3B14004 18029148
	v_pk_mul_f32 v[6:7], v[74:75], v[74:75]                    // 00000000A5A8: D3B14006 1802954A
	v_pk_fma_f32 v[4:5], v[4:5], s[78:79], v[8:9]              // 00000000A5B0: D3B04004 1C209D04
	v_pk_fma_f32 v[6:7], v[6:7], s[78:79], v[8:9]              // 00000000A5B8: D3B04006 1C209D06
	v_pk_mul_f32 v[4:5], v[4:5], v[72:73]                      // 00000000A5C0: D3B14004 18029104
	v_pk_mul_f32 v[6:7], v[6:7], v[74:75]                      // 00000000A5C8: D3B14006 18029506
	v_pk_mul_f32 v[4:5], v[4:5], s[60:61]                      // 00000000A5D0: D3B14004 18007904
	v_pk_mul_f32 v[6:7], v[6:7], s[60:61]                      // 00000000A5D8: D3B14006 18007906
	v_exp_f32_e32 v4, v4                                       // 00000000A5E0: 7E084104
	v_exp_f32_e32 v5, v5                                       // 00000000A5E4: 7E0A4105
	v_exp_f32_e32 v6, v6                                       // 00000000A5E8: 7E0C4106
	v_exp_f32_e32 v7, v7                                       // 00000000A5EC: 7E0E4107
	v_add_f32_e64 v4, v4, 1.0                                  // 00000000A5F0: D1010004 0001E504
	v_add_f32_e64 v5, v5, 1.0                                  // 00000000A5F8: D1010005 0001E505
	v_add_f32_e64 v6, v6, 1.0                                  // 00000000A600: D1010006 0001E506
	v_add_f32_e64 v7, v7, 1.0                                  // 00000000A608: D1010007 0001E507
	v_rcp_f32_e32 v4, v4                                       // 00000000A610: 7E084504
	v_rcp_f32_e32 v5, v5                                       // 00000000A614: 7E0A4505
	v_rcp_f32_e32 v6, v6                                       // 00000000A618: 7E0C4506
	v_rcp_f32_e32 v7, v7                                       // 00000000A61C: 7E0E4507
	v_mul_f32_e32 v72, v72, v4                                 // 00000000A620: 0A900948
	v_mul_f32_e32 v73, v73, v5                                 // 00000000A624: 0A920B49
	v_mul_f32_e32 v74, v74, v6                                 // 00000000A628: 0A940D4A
	v_mul_f32_e32 v75, v75, v7                                 // 00000000A62C: 0A960F4B
	v_mul_f32_e32 v72, v72, v152                               // 00000000A630: 0A913148
	v_mul_f32_e32 v73, v73, v153                               // 00000000A634: 0A933349
	v_mul_f32_e32 v74, v74, v154                               // 00000000A638: 0A95354A
	v_mul_f32_e32 v75, v75, v155                               // 00000000A63C: 0A97374B
	v_pk_mul_f32 v[4:5], v[76:77], v[76:77]                    // 00000000A640: D3B14004 1802994C
	v_pk_mul_f32 v[6:7], v[78:79], v[78:79]                    // 00000000A648: D3B14006 18029D4E
	v_pk_fma_f32 v[4:5], v[4:5], s[78:79], v[8:9]              // 00000000A650: D3B04004 1C209D04
	v_pk_fma_f32 v[6:7], v[6:7], s[78:79], v[8:9]              // 00000000A658: D3B04006 1C209D06
	v_pk_mul_f32 v[4:5], v[4:5], v[76:77]                      // 00000000A660: D3B14004 18029904
	v_pk_mul_f32 v[6:7], v[6:7], v[78:79]                      // 00000000A668: D3B14006 18029D06
	v_pk_mul_f32 v[4:5], v[4:5], s[60:61]                      // 00000000A670: D3B14004 18007904
	v_pk_mul_f32 v[6:7], v[6:7], s[60:61]                      // 00000000A678: D3B14006 18007906
	v_exp_f32_e32 v4, v4                                       // 00000000A680: 7E084104
	v_exp_f32_e32 v5, v5                                       // 00000000A684: 7E0A4105
	v_exp_f32_e32 v6, v6                                       // 00000000A688: 7E0C4106
	v_exp_f32_e32 v7, v7                                       // 00000000A68C: 7E0E4107
	v_add_f32_e64 v4, v4, 1.0                                  // 00000000A690: D1010004 0001E504
	v_add_f32_e64 v5, v5, 1.0                                  // 00000000A698: D1010005 0001E505
	v_add_f32_e64 v6, v6, 1.0                                  // 00000000A6A0: D1010006 0001E506
	v_add_f32_e64 v7, v7, 1.0                                  // 00000000A6A8: D1010007 0001E507
	v_rcp_f32_e32 v4, v4                                       // 00000000A6B0: 7E084504
	v_rcp_f32_e32 v5, v5                                       // 00000000A6B4: 7E0A4505
	v_rcp_f32_e32 v6, v6                                       // 00000000A6B8: 7E0C4506
	v_rcp_f32_e32 v7, v7                                       // 00000000A6BC: 7E0E4507
	v_mul_f32_e32 v76, v76, v4                                 // 00000000A6C0: 0A98094C
	v_mul_f32_e32 v77, v77, v5                                 // 00000000A6C4: 0A9A0B4D
	v_mul_f32_e32 v78, v78, v6                                 // 00000000A6C8: 0A9C0D4E
	v_mul_f32_e32 v79, v79, v7                                 // 00000000A6CC: 0A9E0F4F
	v_mul_f32_e32 v76, v76, v156                               // 00000000A6D0: 0A99394C
	v_mul_f32_e32 v77, v77, v157                               // 00000000A6D4: 0A9B3B4D
	v_mul_f32_e32 v78, v78, v158                               // 00000000A6D8: 0A9D3D4E
	v_mul_f32_e32 v79, v79, v159                               // 00000000A6DC: 0A9F3F4F
	v_pk_mul_f32 v[4:5], v[80:81], v[80:81]                    // 00000000A6E0: D3B14004 1802A150
	v_pk_mul_f32 v[6:7], v[82:83], v[82:83]                    // 00000000A6E8: D3B14006 1802A552
	v_pk_fma_f32 v[4:5], v[4:5], s[78:79], v[8:9]              // 00000000A6F0: D3B04004 1C209D04
	v_pk_fma_f32 v[6:7], v[6:7], s[78:79], v[8:9]              // 00000000A6F8: D3B04006 1C209D06
	v_pk_mul_f32 v[4:5], v[4:5], v[80:81]                      // 00000000A700: D3B14004 1802A104
	v_pk_mul_f32 v[6:7], v[6:7], v[82:83]                      // 00000000A708: D3B14006 1802A506
	v_pk_mul_f32 v[4:5], v[4:5], s[60:61]                      // 00000000A710: D3B14004 18007904
	v_pk_mul_f32 v[6:7], v[6:7], s[60:61]                      // 00000000A718: D3B14006 18007906
	v_exp_f32_e32 v4, v4                                       // 00000000A720: 7E084104
	v_exp_f32_e32 v5, v5                                       // 00000000A724: 7E0A4105
	v_exp_f32_e32 v6, v6                                       // 00000000A728: 7E0C4106
	v_exp_f32_e32 v7, v7                                       // 00000000A72C: 7E0E4107
	v_add_f32_e64 v4, v4, 1.0                                  // 00000000A730: D1010004 0001E504
	v_add_f32_e64 v5, v5, 1.0                                  // 00000000A738: D1010005 0001E505
	v_add_f32_e64 v6, v6, 1.0                                  // 00000000A740: D1010006 0001E506
	v_add_f32_e64 v7, v7, 1.0                                  // 00000000A748: D1010007 0001E507
	v_rcp_f32_e32 v4, v4                                       // 00000000A750: 7E084504
	v_rcp_f32_e32 v5, v5                                       // 00000000A754: 7E0A4505
	v_rcp_f32_e32 v6, v6                                       // 00000000A758: 7E0C4506
	v_rcp_f32_e32 v7, v7                                       // 00000000A75C: 7E0E4507
	v_mul_f32_e32 v80, v80, v4                                 // 00000000A760: 0AA00950
	v_mul_f32_e32 v81, v81, v5                                 // 00000000A764: 0AA20B51
	v_mul_f32_e32 v82, v82, v6                                 // 00000000A768: 0AA40D52
	v_mul_f32_e32 v83, v83, v7                                 // 00000000A76C: 0AA60F53
	v_mul_f32_e32 v80, v80, v160                               // 00000000A770: 0AA14150
	v_mul_f32_e32 v81, v81, v161                               // 00000000A774: 0AA34351
	v_mul_f32_e32 v82, v82, v162                               // 00000000A778: 0AA54552
	v_mul_f32_e32 v83, v83, v163                               // 00000000A77C: 0AA74753
	v_pk_mul_f32 v[4:5], v[84:85], v[84:85]                    // 00000000A780: D3B14004 1802A954
	v_pk_mul_f32 v[6:7], v[86:87], v[86:87]                    // 00000000A788: D3B14006 1802AD56
	v_pk_fma_f32 v[4:5], v[4:5], s[78:79], v[8:9]              // 00000000A790: D3B04004 1C209D04
	v_pk_fma_f32 v[6:7], v[6:7], s[78:79], v[8:9]              // 00000000A798: D3B04006 1C209D06
	v_pk_mul_f32 v[4:5], v[4:5], v[84:85]                      // 00000000A7A0: D3B14004 1802A904
	v_pk_mul_f32 v[6:7], v[6:7], v[86:87]                      // 00000000A7A8: D3B14006 1802AD06
	v_pk_mul_f32 v[4:5], v[4:5], s[60:61]                      // 00000000A7B0: D3B14004 18007904
	v_pk_mul_f32 v[6:7], v[6:7], s[60:61]                      // 00000000A7B8: D3B14006 18007906
	v_exp_f32_e32 v4, v4                                       // 00000000A7C0: 7E084104
	v_exp_f32_e32 v5, v5                                       // 00000000A7C4: 7E0A4105
	v_exp_f32_e32 v6, v6                                       // 00000000A7C8: 7E0C4106
	v_exp_f32_e32 v7, v7                                       // 00000000A7CC: 7E0E4107
	v_add_f32_e64 v4, v4, 1.0                                  // 00000000A7D0: D1010004 0001E504
	v_add_f32_e64 v5, v5, 1.0                                  // 00000000A7D8: D1010005 0001E505
	v_add_f32_e64 v6, v6, 1.0                                  // 00000000A7E0: D1010006 0001E506
	v_add_f32_e64 v7, v7, 1.0                                  // 00000000A7E8: D1010007 0001E507
	v_rcp_f32_e32 v4, v4                                       // 00000000A7F0: 7E084504
	v_rcp_f32_e32 v5, v5                                       // 00000000A7F4: 7E0A4505
	v_rcp_f32_e32 v6, v6                                       // 00000000A7F8: 7E0C4506
	v_rcp_f32_e32 v7, v7                                       // 00000000A7FC: 7E0E4507
	v_mul_f32_e32 v84, v84, v4                                 // 00000000A800: 0AA80954
	v_mul_f32_e32 v85, v85, v5                                 // 00000000A804: 0AAA0B55
	v_mul_f32_e32 v86, v86, v6                                 // 00000000A808: 0AAC0D56
	v_mul_f32_e32 v87, v87, v7                                 // 00000000A80C: 0AAE0F57
	v_mul_f32_e32 v84, v84, v164                               // 00000000A810: 0AA94954
	v_mul_f32_e32 v85, v85, v165                               // 00000000A814: 0AAB4B55
	v_mul_f32_e32 v86, v86, v166                               // 00000000A818: 0AAD4D56
	v_mul_f32_e32 v87, v87, v167                               // 00000000A81C: 0AAF4F57
	v_pk_mul_f32 v[4:5], v[88:89], v[88:89]                    // 00000000A820: D3B14004 1802B158
	v_pk_mul_f32 v[6:7], v[90:91], v[90:91]                    // 00000000A828: D3B14006 1802B55A
	v_pk_fma_f32 v[4:5], v[4:5], s[78:79], v[8:9]              // 00000000A830: D3B04004 1C209D04
	v_pk_fma_f32 v[6:7], v[6:7], s[78:79], v[8:9]              // 00000000A838: D3B04006 1C209D06
	v_pk_mul_f32 v[4:5], v[4:5], v[88:89]                      // 00000000A840: D3B14004 1802B104
	v_pk_mul_f32 v[6:7], v[6:7], v[90:91]                      // 00000000A848: D3B14006 1802B506
	v_pk_mul_f32 v[4:5], v[4:5], s[60:61]                      // 00000000A850: D3B14004 18007904
	v_pk_mul_f32 v[6:7], v[6:7], s[60:61]                      // 00000000A858: D3B14006 18007906
	v_exp_f32_e32 v4, v4                                       // 00000000A860: 7E084104
	v_exp_f32_e32 v5, v5                                       // 00000000A864: 7E0A4105
	v_exp_f32_e32 v6, v6                                       // 00000000A868: 7E0C4106
	v_exp_f32_e32 v7, v7                                       // 00000000A86C: 7E0E4107
	v_add_f32_e64 v4, v4, 1.0                                  // 00000000A870: D1010004 0001E504
	v_add_f32_e64 v5, v5, 1.0                                  // 00000000A878: D1010005 0001E505
	v_add_f32_e64 v6, v6, 1.0                                  // 00000000A880: D1010006 0001E506
	v_add_f32_e64 v7, v7, 1.0                                  // 00000000A888: D1010007 0001E507
	v_rcp_f32_e32 v4, v4                                       // 00000000A890: 7E084504
	v_rcp_f32_e32 v5, v5                                       // 00000000A894: 7E0A4505
	v_rcp_f32_e32 v6, v6                                       // 00000000A898: 7E0C4506
	v_rcp_f32_e32 v7, v7                                       // 00000000A89C: 7E0E4507
	v_mul_f32_e32 v88, v88, v4                                 // 00000000A8A0: 0AB00958
	v_mul_f32_e32 v89, v89, v5                                 // 00000000A8A4: 0AB20B59
	v_mul_f32_e32 v90, v90, v6                                 // 00000000A8A8: 0AB40D5A
	v_mul_f32_e32 v91, v91, v7                                 // 00000000A8AC: 0AB60F5B
	v_mul_f32_e32 v88, v88, v168                               // 00000000A8B0: 0AB15158
	v_mul_f32_e32 v89, v89, v169                               // 00000000A8B4: 0AB35359
	v_mul_f32_e32 v90, v90, v170                               // 00000000A8B8: 0AB5555A
	v_mul_f32_e32 v91, v91, v171                               // 00000000A8BC: 0AB7575B
	v_pk_mul_f32 v[4:5], v[92:93], v[92:93]                    // 00000000A8C0: D3B14004 1802B95C
	v_pk_mul_f32 v[6:7], v[94:95], v[94:95]                    // 00000000A8C8: D3B14006 1802BD5E
	v_pk_fma_f32 v[4:5], v[4:5], s[78:79], v[8:9]              // 00000000A8D0: D3B04004 1C209D04
	v_pk_fma_f32 v[6:7], v[6:7], s[78:79], v[8:9]              // 00000000A8D8: D3B04006 1C209D06
	v_pk_mul_f32 v[4:5], v[4:5], v[92:93]                      // 00000000A8E0: D3B14004 1802B904
	v_pk_mul_f32 v[6:7], v[6:7], v[94:95]                      // 00000000A8E8: D3B14006 1802BD06
	v_pk_mul_f32 v[4:5], v[4:5], s[60:61]                      // 00000000A8F0: D3B14004 18007904
	v_pk_mul_f32 v[6:7], v[6:7], s[60:61]                      // 00000000A8F8: D3B14006 18007906
	v_exp_f32_e32 v4, v4                                       // 00000000A900: 7E084104
	v_exp_f32_e32 v5, v5                                       // 00000000A904: 7E0A4105
	v_exp_f32_e32 v6, v6                                       // 00000000A908: 7E0C4106
	v_exp_f32_e32 v7, v7                                       // 00000000A90C: 7E0E4107
	v_add_f32_e64 v4, v4, 1.0                                  // 00000000A910: D1010004 0001E504
	v_add_f32_e64 v5, v5, 1.0                                  // 00000000A918: D1010005 0001E505
	v_add_f32_e64 v6, v6, 1.0                                  // 00000000A920: D1010006 0001E506
	v_add_f32_e64 v7, v7, 1.0                                  // 00000000A928: D1010007 0001E507
	v_rcp_f32_e32 v4, v4                                       // 00000000A930: 7E084504
	v_rcp_f32_e32 v5, v5                                       // 00000000A934: 7E0A4505
	v_rcp_f32_e32 v6, v6                                       // 00000000A938: 7E0C4506
	v_rcp_f32_e32 v7, v7                                       // 00000000A93C: 7E0E4507
	v_mul_f32_e32 v92, v92, v4                                 // 00000000A940: 0AB8095C
	v_mul_f32_e32 v93, v93, v5                                 // 00000000A944: 0ABA0B5D
	v_mul_f32_e32 v94, v94, v6                                 // 00000000A948: 0ABC0D5E
	v_mul_f32_e32 v95, v95, v7                                 // 00000000A94C: 0ABE0F5F
	v_mul_f32_e32 v92, v92, v172                               // 00000000A950: 0AB9595C
	v_mul_f32_e32 v93, v93, v173                               // 00000000A954: 0ABB5B5D
	v_mul_f32_e32 v94, v94, v174                               // 00000000A958: 0ABD5D5E
	v_mul_f32_e32 v95, v95, v175                               // 00000000A95C: 0ABF5F5F
	v_pk_mul_f32 v[4:5], v[96:97], v[96:97]                    // 00000000A960: D3B14004 1802C160
	v_pk_mul_f32 v[6:7], v[98:99], v[98:99]                    // 00000000A968: D3B14006 1802C562
	v_pk_fma_f32 v[4:5], v[4:5], s[78:79], v[8:9]              // 00000000A970: D3B04004 1C209D04
	v_pk_fma_f32 v[6:7], v[6:7], s[78:79], v[8:9]              // 00000000A978: D3B04006 1C209D06
	v_pk_mul_f32 v[4:5], v[4:5], v[96:97]                      // 00000000A980: D3B14004 1802C104
	v_pk_mul_f32 v[6:7], v[6:7], v[98:99]                      // 00000000A988: D3B14006 1802C506
	v_pk_mul_f32 v[4:5], v[4:5], s[60:61]                      // 00000000A990: D3B14004 18007904
	v_pk_mul_f32 v[6:7], v[6:7], s[60:61]                      // 00000000A998: D3B14006 18007906
	v_exp_f32_e32 v4, v4                                       // 00000000A9A0: 7E084104
	v_exp_f32_e32 v5, v5                                       // 00000000A9A4: 7E0A4105
	v_exp_f32_e32 v6, v6                                       // 00000000A9A8: 7E0C4106
	v_exp_f32_e32 v7, v7                                       // 00000000A9AC: 7E0E4107
	v_add_f32_e64 v4, v4, 1.0                                  // 00000000A9B0: D1010004 0001E504
	v_add_f32_e64 v5, v5, 1.0                                  // 00000000A9B8: D1010005 0001E505
	v_add_f32_e64 v6, v6, 1.0                                  // 00000000A9C0: D1010006 0001E506
	v_add_f32_e64 v7, v7, 1.0                                  // 00000000A9C8: D1010007 0001E507
	v_rcp_f32_e32 v4, v4                                       // 00000000A9D0: 7E084504
	v_rcp_f32_e32 v5, v5                                       // 00000000A9D4: 7E0A4505
	v_rcp_f32_e32 v6, v6                                       // 00000000A9D8: 7E0C4506
	v_rcp_f32_e32 v7, v7                                       // 00000000A9DC: 7E0E4507
	v_mul_f32_e32 v96, v96, v4                                 // 00000000A9E0: 0AC00960
	v_mul_f32_e32 v97, v97, v5                                 // 00000000A9E4: 0AC20B61
	v_mul_f32_e32 v98, v98, v6                                 // 00000000A9E8: 0AC40D62
	v_mul_f32_e32 v99, v99, v7                                 // 00000000A9EC: 0AC60F63
	v_mul_f32_e32 v96, v96, v176                               // 00000000A9F0: 0AC16160
	v_mul_f32_e32 v97, v97, v177                               // 00000000A9F4: 0AC36361
	v_mul_f32_e32 v98, v98, v178                               // 00000000A9F8: 0AC56562
	v_mul_f32_e32 v99, v99, v179                               // 00000000A9FC: 0AC76763
	v_pk_mul_f32 v[4:5], v[100:101], v[100:101]                // 00000000AA00: D3B14004 1802C964
	v_pk_mul_f32 v[6:7], v[102:103], v[102:103]                // 00000000AA08: D3B14006 1802CD66
	v_pk_fma_f32 v[4:5], v[4:5], s[78:79], v[8:9]              // 00000000AA10: D3B04004 1C209D04
	v_pk_fma_f32 v[6:7], v[6:7], s[78:79], v[8:9]              // 00000000AA18: D3B04006 1C209D06
	v_pk_mul_f32 v[4:5], v[4:5], v[100:101]                    // 00000000AA20: D3B14004 1802C904
	v_pk_mul_f32 v[6:7], v[6:7], v[102:103]                    // 00000000AA28: D3B14006 1802CD06
	v_pk_mul_f32 v[4:5], v[4:5], s[60:61]                      // 00000000AA30: D3B14004 18007904
	v_pk_mul_f32 v[6:7], v[6:7], s[60:61]                      // 00000000AA38: D3B14006 18007906
	v_exp_f32_e32 v4, v4                                       // 00000000AA40: 7E084104
	v_exp_f32_e32 v5, v5                                       // 00000000AA44: 7E0A4105
	v_exp_f32_e32 v6, v6                                       // 00000000AA48: 7E0C4106
	v_exp_f32_e32 v7, v7                                       // 00000000AA4C: 7E0E4107
	v_add_f32_e64 v4, v4, 1.0                                  // 00000000AA50: D1010004 0001E504
	v_add_f32_e64 v5, v5, 1.0                                  // 00000000AA58: D1010005 0001E505
	v_add_f32_e64 v6, v6, 1.0                                  // 00000000AA60: D1010006 0001E506
	v_add_f32_e64 v7, v7, 1.0                                  // 00000000AA68: D1010007 0001E507
	v_rcp_f32_e32 v4, v4                                       // 00000000AA70: 7E084504
	v_rcp_f32_e32 v5, v5                                       // 00000000AA74: 7E0A4505
	v_rcp_f32_e32 v6, v6                                       // 00000000AA78: 7E0C4506
	v_rcp_f32_e32 v7, v7                                       // 00000000AA7C: 7E0E4507
	v_mul_f32_e32 v100, v100, v4                               // 00000000AA80: 0AC80964
	v_mul_f32_e32 v101, v101, v5                               // 00000000AA84: 0ACA0B65
	v_mul_f32_e32 v102, v102, v6                               // 00000000AA88: 0ACC0D66
	v_mul_f32_e32 v103, v103, v7                               // 00000000AA8C: 0ACE0F67
	v_mul_f32_e32 v100, v100, v180                             // 00000000AA90: 0AC96964
	v_mul_f32_e32 v101, v101, v181                             // 00000000AA94: 0ACB6B65
	v_mul_f32_e32 v102, v102, v182                             // 00000000AA98: 0ACD6D66
	v_mul_f32_e32 v103, v103, v183                             // 00000000AA9C: 0ACF6F67
	v_pk_mul_f32 v[4:5], v[104:105], v[104:105]                // 00000000AAA0: D3B14004 1802D168
	v_pk_mul_f32 v[6:7], v[106:107], v[106:107]                // 00000000AAA8: D3B14006 1802D56A
	v_pk_fma_f32 v[4:5], v[4:5], s[78:79], v[8:9]              // 00000000AAB0: D3B04004 1C209D04
	v_pk_fma_f32 v[6:7], v[6:7], s[78:79], v[8:9]              // 00000000AAB8: D3B04006 1C209D06
	v_pk_mul_f32 v[4:5], v[4:5], v[104:105]                    // 00000000AAC0: D3B14004 1802D104
	v_pk_mul_f32 v[6:7], v[6:7], v[106:107]                    // 00000000AAC8: D3B14006 1802D506
	v_pk_mul_f32 v[4:5], v[4:5], s[60:61]                      // 00000000AAD0: D3B14004 18007904
	v_pk_mul_f32 v[6:7], v[6:7], s[60:61]                      // 00000000AAD8: D3B14006 18007906
	v_exp_f32_e32 v4, v4                                       // 00000000AAE0: 7E084104
	v_exp_f32_e32 v5, v5                                       // 00000000AAE4: 7E0A4105
	v_exp_f32_e32 v6, v6                                       // 00000000AAE8: 7E0C4106
	v_exp_f32_e32 v7, v7                                       // 00000000AAEC: 7E0E4107
	v_add_f32_e64 v4, v4, 1.0                                  // 00000000AAF0: D1010004 0001E504
	v_add_f32_e64 v5, v5, 1.0                                  // 00000000AAF8: D1010005 0001E505
	v_add_f32_e64 v6, v6, 1.0                                  // 00000000AB00: D1010006 0001E506
	v_add_f32_e64 v7, v7, 1.0                                  // 00000000AB08: D1010007 0001E507
	v_rcp_f32_e32 v4, v4                                       // 00000000AB10: 7E084504
	v_rcp_f32_e32 v5, v5                                       // 00000000AB14: 7E0A4505
	v_rcp_f32_e32 v6, v6                                       // 00000000AB18: 7E0C4506
	v_rcp_f32_e32 v7, v7                                       // 00000000AB1C: 7E0E4507
	v_mul_f32_e32 v104, v104, v4                               // 00000000AB20: 0AD00968
	v_mul_f32_e32 v105, v105, v5                               // 00000000AB24: 0AD20B69
	v_mul_f32_e32 v106, v106, v6                               // 00000000AB28: 0AD40D6A
	v_mul_f32_e32 v107, v107, v7                               // 00000000AB2C: 0AD60F6B
	v_mul_f32_e32 v104, v104, v184                             // 00000000AB30: 0AD17168
	v_mul_f32_e32 v105, v105, v185                             // 00000000AB34: 0AD37369
	v_mul_f32_e32 v106, v106, v186                             // 00000000AB38: 0AD5756A
	v_mul_f32_e32 v107, v107, v187                             // 00000000AB3C: 0AD7776B
	v_pk_mul_f32 v[4:5], v[108:109], v[108:109]                // 00000000AB40: D3B14004 1802D96C
	v_pk_mul_f32 v[6:7], v[110:111], v[110:111]                // 00000000AB48: D3B14006 1802DD6E
	v_pk_fma_f32 v[4:5], v[4:5], s[78:79], v[8:9]              // 00000000AB50: D3B04004 1C209D04
	v_pk_fma_f32 v[6:7], v[6:7], s[78:79], v[8:9]              // 00000000AB58: D3B04006 1C209D06
	v_pk_mul_f32 v[4:5], v[4:5], v[108:109]                    // 00000000AB60: D3B14004 1802D904
	v_pk_mul_f32 v[6:7], v[6:7], v[110:111]                    // 00000000AB68: D3B14006 1802DD06
	v_pk_mul_f32 v[4:5], v[4:5], s[60:61]                      // 00000000AB70: D3B14004 18007904
	v_pk_mul_f32 v[6:7], v[6:7], s[60:61]                      // 00000000AB78: D3B14006 18007906
	v_exp_f32_e32 v4, v4                                       // 00000000AB80: 7E084104
	v_exp_f32_e32 v5, v5                                       // 00000000AB84: 7E0A4105
	v_exp_f32_e32 v6, v6                                       // 00000000AB88: 7E0C4106
	v_exp_f32_e32 v7, v7                                       // 00000000AB8C: 7E0E4107
	v_add_f32_e64 v4, v4, 1.0                                  // 00000000AB90: D1010004 0001E504
	v_add_f32_e64 v5, v5, 1.0                                  // 00000000AB98: D1010005 0001E505
	v_add_f32_e64 v6, v6, 1.0                                  // 00000000ABA0: D1010006 0001E506
	v_add_f32_e64 v7, v7, 1.0                                  // 00000000ABA8: D1010007 0001E507
	v_rcp_f32_e32 v4, v4                                       // 00000000ABB0: 7E084504
	v_rcp_f32_e32 v5, v5                                       // 00000000ABB4: 7E0A4505
	v_rcp_f32_e32 v6, v6                                       // 00000000ABB8: 7E0C4506
	v_rcp_f32_e32 v7, v7                                       // 00000000ABBC: 7E0E4507
	v_mul_f32_e32 v108, v108, v4                               // 00000000ABC0: 0AD8096C
	v_mul_f32_e32 v109, v109, v5                               // 00000000ABC4: 0ADA0B6D
	v_mul_f32_e32 v110, v110, v6                               // 00000000ABC8: 0ADC0D6E
	v_mul_f32_e32 v111, v111, v7                               // 00000000ABCC: 0ADE0F6F
	v_mul_f32_e32 v108, v108, v188                             // 00000000ABD0: 0AD9796C
	v_mul_f32_e32 v109, v109, v189                             // 00000000ABD4: 0ADB7B6D
	v_mul_f32_e32 v110, v110, v190                             // 00000000ABD8: 0ADD7D6E
	v_mul_f32_e32 v111, v111, v191                             // 00000000ABDC: 0ADF7F6F
	v_pk_mul_f32 v[4:5], v[112:113], v[112:113]                // 00000000ABE0: D3B14004 1802E170
	v_pk_mul_f32 v[6:7], v[114:115], v[114:115]                // 00000000ABE8: D3B14006 1802E572
	v_pk_fma_f32 v[4:5], v[4:5], s[78:79], v[8:9]              // 00000000ABF0: D3B04004 1C209D04
	v_pk_fma_f32 v[6:7], v[6:7], s[78:79], v[8:9]              // 00000000ABF8: D3B04006 1C209D06
	v_pk_mul_f32 v[4:5], v[4:5], v[112:113]                    // 00000000AC00: D3B14004 1802E104
	v_pk_mul_f32 v[6:7], v[6:7], v[114:115]                    // 00000000AC08: D3B14006 1802E506
	v_pk_mul_f32 v[4:5], v[4:5], s[60:61]                      // 00000000AC10: D3B14004 18007904
	v_pk_mul_f32 v[6:7], v[6:7], s[60:61]                      // 00000000AC18: D3B14006 18007906
	v_exp_f32_e32 v4, v4                                       // 00000000AC20: 7E084104
	v_exp_f32_e32 v5, v5                                       // 00000000AC24: 7E0A4105
	v_exp_f32_e32 v6, v6                                       // 00000000AC28: 7E0C4106
	v_exp_f32_e32 v7, v7                                       // 00000000AC2C: 7E0E4107
	v_add_f32_e64 v4, v4, 1.0                                  // 00000000AC30: D1010004 0001E504
	v_add_f32_e64 v5, v5, 1.0                                  // 00000000AC38: D1010005 0001E505
	v_add_f32_e64 v6, v6, 1.0                                  // 00000000AC40: D1010006 0001E506
	v_add_f32_e64 v7, v7, 1.0                                  // 00000000AC48: D1010007 0001E507
	v_rcp_f32_e32 v4, v4                                       // 00000000AC50: 7E084504
	v_rcp_f32_e32 v5, v5                                       // 00000000AC54: 7E0A4505
	v_rcp_f32_e32 v6, v6                                       // 00000000AC58: 7E0C4506
	v_rcp_f32_e32 v7, v7                                       // 00000000AC5C: 7E0E4507
	v_mul_f32_e32 v112, v112, v4                               // 00000000AC60: 0AE00970
	v_mul_f32_e32 v113, v113, v5                               // 00000000AC64: 0AE20B71
	v_mul_f32_e32 v114, v114, v6                               // 00000000AC68: 0AE40D72
	v_mul_f32_e32 v115, v115, v7                               // 00000000AC6C: 0AE60F73
	v_mul_f32_e32 v112, v112, v192                             // 00000000AC70: 0AE18170
	v_mul_f32_e32 v113, v113, v193                             // 00000000AC74: 0AE38371
	v_mul_f32_e32 v114, v114, v194                             // 00000000AC78: 0AE58572
	v_mul_f32_e32 v115, v115, v195                             // 00000000AC7C: 0AE78773
	v_pk_mul_f32 v[4:5], v[116:117], v[116:117]                // 00000000AC80: D3B14004 1802E974
	v_pk_mul_f32 v[6:7], v[118:119], v[118:119]                // 00000000AC88: D3B14006 1802ED76
	v_pk_fma_f32 v[4:5], v[4:5], s[78:79], v[8:9]              // 00000000AC90: D3B04004 1C209D04
	v_pk_fma_f32 v[6:7], v[6:7], s[78:79], v[8:9]              // 00000000AC98: D3B04006 1C209D06
	v_pk_mul_f32 v[4:5], v[4:5], v[116:117]                    // 00000000ACA0: D3B14004 1802E904
	v_pk_mul_f32 v[6:7], v[6:7], v[118:119]                    // 00000000ACA8: D3B14006 1802ED06
	v_pk_mul_f32 v[4:5], v[4:5], s[60:61]                      // 00000000ACB0: D3B14004 18007904
	v_pk_mul_f32 v[6:7], v[6:7], s[60:61]                      // 00000000ACB8: D3B14006 18007906
	v_exp_f32_e32 v4, v4                                       // 00000000ACC0: 7E084104
	v_exp_f32_e32 v5, v5                                       // 00000000ACC4: 7E0A4105
	v_exp_f32_e32 v6, v6                                       // 00000000ACC8: 7E0C4106
	v_exp_f32_e32 v7, v7                                       // 00000000ACCC: 7E0E4107
	v_add_f32_e64 v4, v4, 1.0                                  // 00000000ACD0: D1010004 0001E504
	v_add_f32_e64 v5, v5, 1.0                                  // 00000000ACD8: D1010005 0001E505
	v_add_f32_e64 v6, v6, 1.0                                  // 00000000ACE0: D1010006 0001E506
	v_add_f32_e64 v7, v7, 1.0                                  // 00000000ACE8: D1010007 0001E507
	v_rcp_f32_e32 v4, v4                                       // 00000000ACF0: 7E084504
	v_rcp_f32_e32 v5, v5                                       // 00000000ACF4: 7E0A4505
	v_rcp_f32_e32 v6, v6                                       // 00000000ACF8: 7E0C4506
	v_rcp_f32_e32 v7, v7                                       // 00000000ACFC: 7E0E4507
	v_mul_f32_e32 v116, v116, v4                               // 00000000AD00: 0AE80974
	v_mul_f32_e32 v117, v117, v5                               // 00000000AD04: 0AEA0B75
	v_mul_f32_e32 v118, v118, v6                               // 00000000AD08: 0AEC0D76
	v_mul_f32_e32 v119, v119, v7                               // 00000000AD0C: 0AEE0F77
	v_mul_f32_e32 v116, v116, v196                             // 00000000AD10: 0AE98974
	v_mul_f32_e32 v117, v117, v197                             // 00000000AD14: 0AEB8B75
	v_mul_f32_e32 v118, v118, v198                             // 00000000AD18: 0AED8D76
	v_mul_f32_e32 v119, v119, v199                             // 00000000AD1C: 0AEF8F77
	v_pk_mul_f32 v[4:5], v[120:121], v[120:121]                // 00000000AD20: D3B14004 1802F178
	v_pk_mul_f32 v[6:7], v[122:123], v[122:123]                // 00000000AD28: D3B14006 1802F57A
	v_pk_fma_f32 v[4:5], v[4:5], s[78:79], v[8:9]              // 00000000AD30: D3B04004 1C209D04
	v_pk_fma_f32 v[6:7], v[6:7], s[78:79], v[8:9]              // 00000000AD38: D3B04006 1C209D06
	v_pk_mul_f32 v[4:5], v[4:5], v[120:121]                    // 00000000AD40: D3B14004 1802F104
	v_pk_mul_f32 v[6:7], v[6:7], v[122:123]                    // 00000000AD48: D3B14006 1802F506
	v_pk_mul_f32 v[4:5], v[4:5], s[60:61]                      // 00000000AD50: D3B14004 18007904
	v_pk_mul_f32 v[6:7], v[6:7], s[60:61]                      // 00000000AD58: D3B14006 18007906
	v_exp_f32_e32 v4, v4                                       // 00000000AD60: 7E084104
	v_exp_f32_e32 v5, v5                                       // 00000000AD64: 7E0A4105
	v_exp_f32_e32 v6, v6                                       // 00000000AD68: 7E0C4106
	v_exp_f32_e32 v7, v7                                       // 00000000AD6C: 7E0E4107
	v_add_f32_e64 v4, v4, 1.0                                  // 00000000AD70: D1010004 0001E504
	v_add_f32_e64 v5, v5, 1.0                                  // 00000000AD78: D1010005 0001E505
	v_add_f32_e64 v6, v6, 1.0                                  // 00000000AD80: D1010006 0001E506
	v_add_f32_e64 v7, v7, 1.0                                  // 00000000AD88: D1010007 0001E507
	v_rcp_f32_e32 v4, v4                                       // 00000000AD90: 7E084504
	v_rcp_f32_e32 v5, v5                                       // 00000000AD94: 7E0A4505
	v_rcp_f32_e32 v6, v6                                       // 00000000AD98: 7E0C4506
	v_rcp_f32_e32 v7, v7                                       // 00000000AD9C: 7E0E4507
	v_mul_f32_e32 v120, v120, v4                               // 00000000ADA0: 0AF00978
	v_mul_f32_e32 v121, v121, v5                               // 00000000ADA4: 0AF20B79
	v_mul_f32_e32 v122, v122, v6                               // 00000000ADA8: 0AF40D7A
	v_mul_f32_e32 v123, v123, v7                               // 00000000ADAC: 0AF60F7B
	v_mul_f32_e32 v120, v120, v200                             // 00000000ADB0: 0AF19178
	v_mul_f32_e32 v121, v121, v201                             // 00000000ADB4: 0AF39379
	v_mul_f32_e32 v122, v122, v202                             // 00000000ADB8: 0AF5957A
	v_mul_f32_e32 v123, v123, v203                             // 00000000ADBC: 0AF7977B
	v_pk_mul_f32 v[4:5], v[124:125], v[124:125]                // 00000000ADC0: D3B14004 1802F97C
	v_pk_mul_f32 v[6:7], v[126:127], v[126:127]                // 00000000ADC8: D3B14006 1802FD7E
	v_pk_fma_f32 v[4:5], v[4:5], s[78:79], v[8:9]              // 00000000ADD0: D3B04004 1C209D04
	v_pk_fma_f32 v[6:7], v[6:7], s[78:79], v[8:9]              // 00000000ADD8: D3B04006 1C209D06
	v_pk_mul_f32 v[4:5], v[4:5], v[124:125]                    // 00000000ADE0: D3B14004 1802F904
	v_pk_mul_f32 v[6:7], v[6:7], v[126:127]                    // 00000000ADE8: D3B14006 1802FD06
	v_pk_mul_f32 v[4:5], v[4:5], s[60:61]                      // 00000000ADF0: D3B14004 18007904
	v_pk_mul_f32 v[6:7], v[6:7], s[60:61]                      // 00000000ADF8: D3B14006 18007906
	v_exp_f32_e32 v4, v4                                       // 00000000AE00: 7E084104
	v_exp_f32_e32 v5, v5                                       // 00000000AE04: 7E0A4105
	v_exp_f32_e32 v6, v6                                       // 00000000AE08: 7E0C4106
	v_exp_f32_e32 v7, v7                                       // 00000000AE0C: 7E0E4107
	v_add_f32_e64 v4, v4, 1.0                                  // 00000000AE10: D1010004 0001E504
	v_add_f32_e64 v5, v5, 1.0                                  // 00000000AE18: D1010005 0001E505
	v_add_f32_e64 v6, v6, 1.0                                  // 00000000AE20: D1010006 0001E506
	v_add_f32_e64 v7, v7, 1.0                                  // 00000000AE28: D1010007 0001E507
	v_rcp_f32_e32 v4, v4                                       // 00000000AE30: 7E084504
	v_rcp_f32_e32 v5, v5                                       // 00000000AE34: 7E0A4505
	v_rcp_f32_e32 v6, v6                                       // 00000000AE38: 7E0C4506
	v_rcp_f32_e32 v7, v7                                       // 00000000AE3C: 7E0E4507
	v_mul_f32_e32 v124, v124, v4                               // 00000000AE40: 0AF8097C
	v_mul_f32_e32 v125, v125, v5                               // 00000000AE44: 0AFA0B7D
	v_mul_f32_e32 v126, v126, v6                               // 00000000AE48: 0AFC0D7E
	v_mul_f32_e32 v127, v127, v7                               // 00000000AE4C: 0AFE0F7F
	v_mul_f32_e32 v124, v124, v204                             // 00000000AE50: 0AF9997C
	v_mul_f32_e32 v125, v125, v205                             // 00000000AE54: 0AFB9B7D
	v_mul_f32_e32 v126, v126, v206                             // 00000000AE58: 0AFD9D7E
	v_mul_f32_e32 v127, v127, v207                             // 00000000AE5C: 0AFF9F7F
	v_pk_mul_f32 v[4:5], v[128:129], v[128:129]                // 00000000AE60: D3B14004 18030180
	v_pk_mul_f32 v[6:7], v[130:131], v[130:131]                // 00000000AE68: D3B14006 18030582
	v_pk_fma_f32 v[4:5], v[4:5], s[78:79], v[8:9]              // 00000000AE70: D3B04004 1C209D04
	v_pk_fma_f32 v[6:7], v[6:7], s[78:79], v[8:9]              // 00000000AE78: D3B04006 1C209D06
	v_pk_mul_f32 v[4:5], v[4:5], v[128:129]                    // 00000000AE80: D3B14004 18030104
	v_pk_mul_f32 v[6:7], v[6:7], v[130:131]                    // 00000000AE88: D3B14006 18030506
	v_pk_mul_f32 v[4:5], v[4:5], s[60:61]                      // 00000000AE90: D3B14004 18007904
	v_pk_mul_f32 v[6:7], v[6:7], s[60:61]                      // 00000000AE98: D3B14006 18007906
	v_exp_f32_e32 v4, v4                                       // 00000000AEA0: 7E084104
	v_exp_f32_e32 v5, v5                                       // 00000000AEA4: 7E0A4105
	v_exp_f32_e32 v6, v6                                       // 00000000AEA8: 7E0C4106
	v_exp_f32_e32 v7, v7                                       // 00000000AEAC: 7E0E4107
	v_add_f32_e64 v4, v4, 1.0                                  // 00000000AEB0: D1010004 0001E504
	v_add_f32_e64 v5, v5, 1.0                                  // 00000000AEB8: D1010005 0001E505
	v_add_f32_e64 v6, v6, 1.0                                  // 00000000AEC0: D1010006 0001E506
	v_add_f32_e64 v7, v7, 1.0                                  // 00000000AEC8: D1010007 0001E507
	v_rcp_f32_e32 v4, v4                                       // 00000000AED0: 7E084504
	v_rcp_f32_e32 v5, v5                                       // 00000000AED4: 7E0A4505
	v_rcp_f32_e32 v6, v6                                       // 00000000AED8: 7E0C4506
	v_rcp_f32_e32 v7, v7                                       // 00000000AEDC: 7E0E4507
	v_mul_f32_e32 v128, v128, v4                               // 00000000AEE0: 0B000980
	v_mul_f32_e32 v129, v129, v5                               // 00000000AEE4: 0B020B81
	v_mul_f32_e32 v130, v130, v6                               // 00000000AEE8: 0B040D82
	v_mul_f32_e32 v131, v131, v7                               // 00000000AEEC: 0B060F83
	v_mul_f32_e32 v128, v128, v208                             // 00000000AEF0: 0B01A180
	v_mul_f32_e32 v129, v129, v209                             // 00000000AEF4: 0B03A381
	v_mul_f32_e32 v130, v130, v210                             // 00000000AEF8: 0B05A582
	v_mul_f32_e32 v131, v131, v211                             // 00000000AEFC: 0B07A783
	v_pk_mul_f32 v[4:5], v[132:133], v[132:133]                // 00000000AF00: D3B14004 18030984
	v_pk_mul_f32 v[6:7], v[134:135], v[134:135]                // 00000000AF08: D3B14006 18030D86
	v_pk_fma_f32 v[4:5], v[4:5], s[78:79], v[8:9]              // 00000000AF10: D3B04004 1C209D04
	v_pk_fma_f32 v[6:7], v[6:7], s[78:79], v[8:9]              // 00000000AF18: D3B04006 1C209D06
	v_pk_mul_f32 v[4:5], v[4:5], v[132:133]                    // 00000000AF20: D3B14004 18030904
	v_pk_mul_f32 v[6:7], v[6:7], v[134:135]                    // 00000000AF28: D3B14006 18030D06
	v_pk_mul_f32 v[4:5], v[4:5], s[60:61]                      // 00000000AF30: D3B14004 18007904
	v_pk_mul_f32 v[6:7], v[6:7], s[60:61]                      // 00000000AF38: D3B14006 18007906
	v_exp_f32_e32 v4, v4                                       // 00000000AF40: 7E084104
	v_exp_f32_e32 v5, v5                                       // 00000000AF44: 7E0A4105
	v_exp_f32_e32 v6, v6                                       // 00000000AF48: 7E0C4106
	v_exp_f32_e32 v7, v7                                       // 00000000AF4C: 7E0E4107
	v_add_f32_e64 v4, v4, 1.0                                  // 00000000AF50: D1010004 0001E504
	v_add_f32_e64 v5, v5, 1.0                                  // 00000000AF58: D1010005 0001E505
	v_add_f32_e64 v6, v6, 1.0                                  // 00000000AF60: D1010006 0001E506
	v_add_f32_e64 v7, v7, 1.0                                  // 00000000AF68: D1010007 0001E507
	v_rcp_f32_e32 v4, v4                                       // 00000000AF70: 7E084504
	v_rcp_f32_e32 v5, v5                                       // 00000000AF74: 7E0A4505
	v_rcp_f32_e32 v6, v6                                       // 00000000AF78: 7E0C4506
	v_rcp_f32_e32 v7, v7                                       // 00000000AF7C: 7E0E4507
	v_mul_f32_e32 v132, v132, v4                               // 00000000AF80: 0B080984
	v_mul_f32_e32 v133, v133, v5                               // 00000000AF84: 0B0A0B85
	v_mul_f32_e32 v134, v134, v6                               // 00000000AF88: 0B0C0D86
	v_mul_f32_e32 v135, v135, v7                               // 00000000AF8C: 0B0E0F87
	v_mul_f32_e32 v132, v132, v212                             // 00000000AF90: 0B09A984
	v_mul_f32_e32 v133, v133, v213                             // 00000000AF94: 0B0BAB85
	v_mul_f32_e32 v134, v134, v214                             // 00000000AF98: 0B0DAD86
	v_mul_f32_e32 v135, v135, v215                             // 00000000AF9C: 0B0FAF87
	v_pk_mul_f32 v[4:5], v[136:137], v[136:137]                // 00000000AFA0: D3B14004 18031188
	v_pk_mul_f32 v[6:7], v[138:139], v[138:139]                // 00000000AFA8: D3B14006 1803158A
	v_pk_fma_f32 v[4:5], v[4:5], s[78:79], v[8:9]              // 00000000AFB0: D3B04004 1C209D04
	v_pk_fma_f32 v[6:7], v[6:7], s[78:79], v[8:9]              // 00000000AFB8: D3B04006 1C209D06
	v_pk_mul_f32 v[4:5], v[4:5], v[136:137]                    // 00000000AFC0: D3B14004 18031104
	v_pk_mul_f32 v[6:7], v[6:7], v[138:139]                    // 00000000AFC8: D3B14006 18031506
	v_pk_mul_f32 v[4:5], v[4:5], s[60:61]                      // 00000000AFD0: D3B14004 18007904
	v_pk_mul_f32 v[6:7], v[6:7], s[60:61]                      // 00000000AFD8: D3B14006 18007906
	v_exp_f32_e32 v4, v4                                       // 00000000AFE0: 7E084104
	v_exp_f32_e32 v5, v5                                       // 00000000AFE4: 7E0A4105
	v_exp_f32_e32 v6, v6                                       // 00000000AFE8: 7E0C4106
	v_exp_f32_e32 v7, v7                                       // 00000000AFEC: 7E0E4107
	v_add_f32_e64 v4, v4, 1.0                                  // 00000000AFF0: D1010004 0001E504
	v_add_f32_e64 v5, v5, 1.0                                  // 00000000AFF8: D1010005 0001E505
	v_add_f32_e64 v6, v6, 1.0                                  // 00000000B000: D1010006 0001E506
	v_add_f32_e64 v7, v7, 1.0                                  // 00000000B008: D1010007 0001E507
	v_rcp_f32_e32 v4, v4                                       // 00000000B010: 7E084504
	v_rcp_f32_e32 v5, v5                                       // 00000000B014: 7E0A4505
	v_rcp_f32_e32 v6, v6                                       // 00000000B018: 7E0C4506
	v_rcp_f32_e32 v7, v7                                       // 00000000B01C: 7E0E4507
	v_mul_f32_e32 v136, v136, v4                               // 00000000B020: 0B100988
	v_mul_f32_e32 v137, v137, v5                               // 00000000B024: 0B120B89
	v_mul_f32_e32 v138, v138, v6                               // 00000000B028: 0B140D8A
	v_mul_f32_e32 v139, v139, v7                               // 00000000B02C: 0B160F8B
	v_mul_f32_e32 v136, v136, v216                             // 00000000B030: 0B11B188
	v_mul_f32_e32 v137, v137, v217                             // 00000000B034: 0B13B389
	v_mul_f32_e32 v138, v138, v218                             // 00000000B038: 0B15B58A
	v_mul_f32_e32 v139, v139, v219                             // 00000000B03C: 0B17B78B
	v_pk_mul_f32 v[4:5], v[140:141], v[140:141]                // 00000000B040: D3B14004 1803198C
	v_pk_mul_f32 v[6:7], v[142:143], v[142:143]                // 00000000B048: D3B14006 18031D8E
	v_pk_fma_f32 v[4:5], v[4:5], s[78:79], v[8:9]              // 00000000B050: D3B04004 1C209D04
	v_pk_fma_f32 v[6:7], v[6:7], s[78:79], v[8:9]              // 00000000B058: D3B04006 1C209D06
	v_pk_mul_f32 v[4:5], v[4:5], v[140:141]                    // 00000000B060: D3B14004 18031904
	v_pk_mul_f32 v[6:7], v[6:7], v[142:143]                    // 00000000B068: D3B14006 18031D06
	v_pk_mul_f32 v[4:5], v[4:5], s[60:61]                      // 00000000B070: D3B14004 18007904
	v_pk_mul_f32 v[6:7], v[6:7], s[60:61]                      // 00000000B078: D3B14006 18007906
	v_exp_f32_e32 v4, v4                                       // 00000000B080: 7E084104
	v_exp_f32_e32 v5, v5                                       // 00000000B084: 7E0A4105
	v_exp_f32_e32 v6, v6                                       // 00000000B088: 7E0C4106
	v_exp_f32_e32 v7, v7                                       // 00000000B08C: 7E0E4107
	v_add_f32_e64 v4, v4, 1.0                                  // 00000000B090: D1010004 0001E504
	v_add_f32_e64 v5, v5, 1.0                                  // 00000000B098: D1010005 0001E505
	v_add_f32_e64 v6, v6, 1.0                                  // 00000000B0A0: D1010006 0001E506
	v_add_f32_e64 v7, v7, 1.0                                  // 00000000B0A8: D1010007 0001E507
	v_rcp_f32_e32 v4, v4                                       // 00000000B0B0: 7E084504
	v_rcp_f32_e32 v5, v5                                       // 00000000B0B4: 7E0A4505
	v_rcp_f32_e32 v6, v6                                       // 00000000B0B8: 7E0C4506
	v_rcp_f32_e32 v7, v7                                       // 00000000B0BC: 7E0E4507
	v_mul_f32_e32 v140, v140, v4                               // 00000000B0C0: 0B18098C
	v_mul_f32_e32 v141, v141, v5                               // 00000000B0C4: 0B1A0B8D
	v_mul_f32_e32 v142, v142, v6                               // 00000000B0C8: 0B1C0D8E
	v_mul_f32_e32 v143, v143, v7                               // 00000000B0CC: 0B1E0F8F
	v_mul_f32_e32 v140, v140, v220                             // 00000000B0D0: 0B19B98C
	v_mul_f32_e32 v141, v141, v221                             // 00000000B0D4: 0B1BBB8D
	v_mul_f32_e32 v142, v142, v222                             // 00000000B0D8: 0B1DBD8E
	v_mul_f32_e32 v143, v143, v223                             // 00000000B0DC: 0B1FBF8F
	s_branch label_243C                                        // 00000000B0E0: BF820280

000000000000b0e4 <label_21BC>:
	v_mul_f32_e64 v4, -v64, s6                                 // 00000000B0E4: D1050004 20000D40
	v_mul_f32_e64 v5, -v65, s6                                 // 00000000B0EC: D1050005 20000D41
	v_mul_f32_e64 v6, -v66, s6                                 // 00000000B0F4: D1050006 20000D42
	v_mul_f32_e64 v7, -v67, s6                                 // 00000000B0FC: D1050007 20000D43
	v_exp_f32_e32 v4, v4                                       // 00000000B104: 7E084104
	v_exp_f32_e32 v5, v5                                       // 00000000B108: 7E0A4105
	v_exp_f32_e32 v6, v6                                       // 00000000B10C: 7E0C4106
	v_exp_f32_e32 v7, v7                                       // 00000000B110: 7E0E4107
	v_add_f32_e64 v4, v4, 1.0                                  // 00000000B114: D1010004 0001E504
	v_add_f32_e64 v5, v5, 1.0                                  // 00000000B11C: D1010005 0001E505
	v_add_f32_e64 v6, v6, 1.0                                  // 00000000B124: D1010006 0001E506
	v_add_f32_e64 v7, v7, 1.0                                  // 00000000B12C: D1010007 0001E507
	v_rcp_f32_e32 v4, v4                                       // 00000000B134: 7E084504
	v_rcp_f32_e32 v5, v5                                       // 00000000B138: 7E0A4505
	v_rcp_f32_e32 v6, v6                                       // 00000000B13C: 7E0C4506
	v_rcp_f32_e32 v7, v7                                       // 00000000B140: 7E0E4507
	v_mul_f32_e32 v64, v64, v4                                 // 00000000B144: 0A800940
	v_mul_f32_e32 v65, v65, v5                                 // 00000000B148: 0A820B41
	v_mul_f32_e32 v66, v66, v6                                 // 00000000B14C: 0A840D42
	v_mul_f32_e32 v67, v67, v7                                 // 00000000B150: 0A860F43
	v_mul_f32_e32 v64, v64, v144                               // 00000000B154: 0A812140
	v_mul_f32_e32 v65, v65, v145                               // 00000000B158: 0A832341
	v_mul_f32_e32 v66, v66, v146                               // 00000000B15C: 0A852542
	v_mul_f32_e32 v67, v67, v147                               // 00000000B160: 0A872743
	v_mul_f32_e64 v4, -v68, s6                                 // 00000000B164: D1050004 20000D44
	v_mul_f32_e64 v5, -v69, s6                                 // 00000000B16C: D1050005 20000D45
	v_mul_f32_e64 v6, -v70, s6                                 // 00000000B174: D1050006 20000D46
	v_mul_f32_e64 v7, -v71, s6                                 // 00000000B17C: D1050007 20000D47
	v_exp_f32_e32 v4, v4                                       // 00000000B184: 7E084104
	v_exp_f32_e32 v5, v5                                       // 00000000B188: 7E0A4105
	v_exp_f32_e32 v6, v6                                       // 00000000B18C: 7E0C4106
	v_exp_f32_e32 v7, v7                                       // 00000000B190: 7E0E4107
	v_add_f32_e64 v4, v4, 1.0                                  // 00000000B194: D1010004 0001E504
	v_add_f32_e64 v5, v5, 1.0                                  // 00000000B19C: D1010005 0001E505
	v_add_f32_e64 v6, v6, 1.0                                  // 00000000B1A4: D1010006 0001E506
	v_add_f32_e64 v7, v7, 1.0                                  // 00000000B1AC: D1010007 0001E507
	v_rcp_f32_e32 v4, v4                                       // 00000000B1B4: 7E084504
	v_rcp_f32_e32 v5, v5                                       // 00000000B1B8: 7E0A4505
	v_rcp_f32_e32 v6, v6                                       // 00000000B1BC: 7E0C4506
	v_rcp_f32_e32 v7, v7                                       // 00000000B1C0: 7E0E4507
	v_mul_f32_e32 v68, v68, v4                                 // 00000000B1C4: 0A880944
	v_mul_f32_e32 v69, v69, v5                                 // 00000000B1C8: 0A8A0B45
	v_mul_f32_e32 v70, v70, v6                                 // 00000000B1CC: 0A8C0D46
	v_mul_f32_e32 v71, v71, v7                                 // 00000000B1D0: 0A8E0F47
	v_mul_f32_e32 v68, v68, v148                               // 00000000B1D4: 0A892944
	v_mul_f32_e32 v69, v69, v149                               // 00000000B1D8: 0A8B2B45
	v_mul_f32_e32 v70, v70, v150                               // 00000000B1DC: 0A8D2D46
	v_mul_f32_e32 v71, v71, v151                               // 00000000B1E0: 0A8F2F47
	v_mul_f32_e64 v4, -v72, s6                                 // 00000000B1E4: D1050004 20000D48
	v_mul_f32_e64 v5, -v73, s6                                 // 00000000B1EC: D1050005 20000D49
	v_mul_f32_e64 v6, -v74, s6                                 // 00000000B1F4: D1050006 20000D4A
	v_mul_f32_e64 v7, -v75, s6                                 // 00000000B1FC: D1050007 20000D4B
	v_exp_f32_e32 v4, v4                                       // 00000000B204: 7E084104
	v_exp_f32_e32 v5, v5                                       // 00000000B208: 7E0A4105
	v_exp_f32_e32 v6, v6                                       // 00000000B20C: 7E0C4106
	v_exp_f32_e32 v7, v7                                       // 00000000B210: 7E0E4107
	v_add_f32_e64 v4, v4, 1.0                                  // 00000000B214: D1010004 0001E504
	v_add_f32_e64 v5, v5, 1.0                                  // 00000000B21C: D1010005 0001E505
	v_add_f32_e64 v6, v6, 1.0                                  // 00000000B224: D1010006 0001E506
	v_add_f32_e64 v7, v7, 1.0                                  // 00000000B22C: D1010007 0001E507
	v_rcp_f32_e32 v4, v4                                       // 00000000B234: 7E084504
	v_rcp_f32_e32 v5, v5                                       // 00000000B238: 7E0A4505
	v_rcp_f32_e32 v6, v6                                       // 00000000B23C: 7E0C4506
	v_rcp_f32_e32 v7, v7                                       // 00000000B240: 7E0E4507
	v_mul_f32_e32 v72, v72, v4                                 // 00000000B244: 0A900948
	v_mul_f32_e32 v73, v73, v5                                 // 00000000B248: 0A920B49
	v_mul_f32_e32 v74, v74, v6                                 // 00000000B24C: 0A940D4A
	v_mul_f32_e32 v75, v75, v7                                 // 00000000B250: 0A960F4B
	v_mul_f32_e32 v72, v72, v152                               // 00000000B254: 0A913148
	v_mul_f32_e32 v73, v73, v153                               // 00000000B258: 0A933349
	v_mul_f32_e32 v74, v74, v154                               // 00000000B25C: 0A95354A
	v_mul_f32_e32 v75, v75, v155                               // 00000000B260: 0A97374B
	v_mul_f32_e64 v4, -v76, s6                                 // 00000000B264: D1050004 20000D4C
	v_mul_f32_e64 v5, -v77, s6                                 // 00000000B26C: D1050005 20000D4D
	v_mul_f32_e64 v6, -v78, s6                                 // 00000000B274: D1050006 20000D4E
	v_mul_f32_e64 v7, -v79, s6                                 // 00000000B27C: D1050007 20000D4F
	v_exp_f32_e32 v4, v4                                       // 00000000B284: 7E084104
	v_exp_f32_e32 v5, v5                                       // 00000000B288: 7E0A4105
	v_exp_f32_e32 v6, v6                                       // 00000000B28C: 7E0C4106
	v_exp_f32_e32 v7, v7                                       // 00000000B290: 7E0E4107
	v_add_f32_e64 v4, v4, 1.0                                  // 00000000B294: D1010004 0001E504
	v_add_f32_e64 v5, v5, 1.0                                  // 00000000B29C: D1010005 0001E505
	v_add_f32_e64 v6, v6, 1.0                                  // 00000000B2A4: D1010006 0001E506
	v_add_f32_e64 v7, v7, 1.0                                  // 00000000B2AC: D1010007 0001E507
	v_rcp_f32_e32 v4, v4                                       // 00000000B2B4: 7E084504
	v_rcp_f32_e32 v5, v5                                       // 00000000B2B8: 7E0A4505
	v_rcp_f32_e32 v6, v6                                       // 00000000B2BC: 7E0C4506
	v_rcp_f32_e32 v7, v7                                       // 00000000B2C0: 7E0E4507
	v_mul_f32_e32 v76, v76, v4                                 // 00000000B2C4: 0A98094C
	v_mul_f32_e32 v77, v77, v5                                 // 00000000B2C8: 0A9A0B4D
	v_mul_f32_e32 v78, v78, v6                                 // 00000000B2CC: 0A9C0D4E
	v_mul_f32_e32 v79, v79, v7                                 // 00000000B2D0: 0A9E0F4F
	v_mul_f32_e32 v76, v76, v156                               // 00000000B2D4: 0A99394C
	v_mul_f32_e32 v77, v77, v157                               // 00000000B2D8: 0A9B3B4D
	v_mul_f32_e32 v78, v78, v158                               // 00000000B2DC: 0A9D3D4E
	v_mul_f32_e32 v79, v79, v159                               // 00000000B2E0: 0A9F3F4F
	v_mul_f32_e64 v4, -v80, s6                                 // 00000000B2E4: D1050004 20000D50
	v_mul_f32_e64 v5, -v81, s6                                 // 00000000B2EC: D1050005 20000D51
	v_mul_f32_e64 v6, -v82, s6                                 // 00000000B2F4: D1050006 20000D52
	v_mul_f32_e64 v7, -v83, s6                                 // 00000000B2FC: D1050007 20000D53
	v_exp_f32_e32 v4, v4                                       // 00000000B304: 7E084104
	v_exp_f32_e32 v5, v5                                       // 00000000B308: 7E0A4105
	v_exp_f32_e32 v6, v6                                       // 00000000B30C: 7E0C4106
	v_exp_f32_e32 v7, v7                                       // 00000000B310: 7E0E4107
	v_add_f32_e64 v4, v4, 1.0                                  // 00000000B314: D1010004 0001E504
	v_add_f32_e64 v5, v5, 1.0                                  // 00000000B31C: D1010005 0001E505
	v_add_f32_e64 v6, v6, 1.0                                  // 00000000B324: D1010006 0001E506
	v_add_f32_e64 v7, v7, 1.0                                  // 00000000B32C: D1010007 0001E507
	v_rcp_f32_e32 v4, v4                                       // 00000000B334: 7E084504
	v_rcp_f32_e32 v5, v5                                       // 00000000B338: 7E0A4505
	v_rcp_f32_e32 v6, v6                                       // 00000000B33C: 7E0C4506
	v_rcp_f32_e32 v7, v7                                       // 00000000B340: 7E0E4507
	v_mul_f32_e32 v80, v80, v4                                 // 00000000B344: 0AA00950
	v_mul_f32_e32 v81, v81, v5                                 // 00000000B348: 0AA20B51
	v_mul_f32_e32 v82, v82, v6                                 // 00000000B34C: 0AA40D52
	v_mul_f32_e32 v83, v83, v7                                 // 00000000B350: 0AA60F53
	v_mul_f32_e32 v80, v80, v160                               // 00000000B354: 0AA14150
	v_mul_f32_e32 v81, v81, v161                               // 00000000B358: 0AA34351
	v_mul_f32_e32 v82, v82, v162                               // 00000000B35C: 0AA54552
	v_mul_f32_e32 v83, v83, v163                               // 00000000B360: 0AA74753
	v_mul_f32_e64 v4, -v84, s6                                 // 00000000B364: D1050004 20000D54
	v_mul_f32_e64 v5, -v85, s6                                 // 00000000B36C: D1050005 20000D55
	v_mul_f32_e64 v6, -v86, s6                                 // 00000000B374: D1050006 20000D56
	v_mul_f32_e64 v7, -v87, s6                                 // 00000000B37C: D1050007 20000D57
	v_exp_f32_e32 v4, v4                                       // 00000000B384: 7E084104
	v_exp_f32_e32 v5, v5                                       // 00000000B388: 7E0A4105
	v_exp_f32_e32 v6, v6                                       // 00000000B38C: 7E0C4106
	v_exp_f32_e32 v7, v7                                       // 00000000B390: 7E0E4107
	v_add_f32_e64 v4, v4, 1.0                                  // 00000000B394: D1010004 0001E504
	v_add_f32_e64 v5, v5, 1.0                                  // 00000000B39C: D1010005 0001E505
	v_add_f32_e64 v6, v6, 1.0                                  // 00000000B3A4: D1010006 0001E506
	v_add_f32_e64 v7, v7, 1.0                                  // 00000000B3AC: D1010007 0001E507
	v_rcp_f32_e32 v4, v4                                       // 00000000B3B4: 7E084504
	v_rcp_f32_e32 v5, v5                                       // 00000000B3B8: 7E0A4505
	v_rcp_f32_e32 v6, v6                                       // 00000000B3BC: 7E0C4506
	v_rcp_f32_e32 v7, v7                                       // 00000000B3C0: 7E0E4507
	v_mul_f32_e32 v84, v84, v4                                 // 00000000B3C4: 0AA80954
	v_mul_f32_e32 v85, v85, v5                                 // 00000000B3C8: 0AAA0B55
	v_mul_f32_e32 v86, v86, v6                                 // 00000000B3CC: 0AAC0D56
	v_mul_f32_e32 v87, v87, v7                                 // 00000000B3D0: 0AAE0F57
	v_mul_f32_e32 v84, v84, v164                               // 00000000B3D4: 0AA94954
	v_mul_f32_e32 v85, v85, v165                               // 00000000B3D8: 0AAB4B55
	v_mul_f32_e32 v86, v86, v166                               // 00000000B3DC: 0AAD4D56
	v_mul_f32_e32 v87, v87, v167                               // 00000000B3E0: 0AAF4F57
	v_mul_f32_e64 v4, -v88, s6                                 // 00000000B3E4: D1050004 20000D58
	v_mul_f32_e64 v5, -v89, s6                                 // 00000000B3EC: D1050005 20000D59
	v_mul_f32_e64 v6, -v90, s6                                 // 00000000B3F4: D1050006 20000D5A
	v_mul_f32_e64 v7, -v91, s6                                 // 00000000B3FC: D1050007 20000D5B
	v_exp_f32_e32 v4, v4                                       // 00000000B404: 7E084104
	v_exp_f32_e32 v5, v5                                       // 00000000B408: 7E0A4105
	v_exp_f32_e32 v6, v6                                       // 00000000B40C: 7E0C4106
	v_exp_f32_e32 v7, v7                                       // 00000000B410: 7E0E4107
	v_add_f32_e64 v4, v4, 1.0                                  // 00000000B414: D1010004 0001E504
	v_add_f32_e64 v5, v5, 1.0                                  // 00000000B41C: D1010005 0001E505
	v_add_f32_e64 v6, v6, 1.0                                  // 00000000B424: D1010006 0001E506
	v_add_f32_e64 v7, v7, 1.0                                  // 00000000B42C: D1010007 0001E507
	v_rcp_f32_e32 v4, v4                                       // 00000000B434: 7E084504
	v_rcp_f32_e32 v5, v5                                       // 00000000B438: 7E0A4505
	v_rcp_f32_e32 v6, v6                                       // 00000000B43C: 7E0C4506
	v_rcp_f32_e32 v7, v7                                       // 00000000B440: 7E0E4507
	v_mul_f32_e32 v88, v88, v4                                 // 00000000B444: 0AB00958
	v_mul_f32_e32 v89, v89, v5                                 // 00000000B448: 0AB20B59
	v_mul_f32_e32 v90, v90, v6                                 // 00000000B44C: 0AB40D5A
	v_mul_f32_e32 v91, v91, v7                                 // 00000000B450: 0AB60F5B
	v_mul_f32_e32 v88, v88, v168                               // 00000000B454: 0AB15158
	v_mul_f32_e32 v89, v89, v169                               // 00000000B458: 0AB35359
	v_mul_f32_e32 v90, v90, v170                               // 00000000B45C: 0AB5555A
	v_mul_f32_e32 v91, v91, v171                               // 00000000B460: 0AB7575B
	v_mul_f32_e64 v4, -v92, s6                                 // 00000000B464: D1050004 20000D5C
	v_mul_f32_e64 v5, -v93, s6                                 // 00000000B46C: D1050005 20000D5D
	v_mul_f32_e64 v6, -v94, s6                                 // 00000000B474: D1050006 20000D5E
	v_mul_f32_e64 v7, -v95, s6                                 // 00000000B47C: D1050007 20000D5F
	v_exp_f32_e32 v4, v4                                       // 00000000B484: 7E084104
	v_exp_f32_e32 v5, v5                                       // 00000000B488: 7E0A4105
	v_exp_f32_e32 v6, v6                                       // 00000000B48C: 7E0C4106
	v_exp_f32_e32 v7, v7                                       // 00000000B490: 7E0E4107
	v_add_f32_e64 v4, v4, 1.0                                  // 00000000B494: D1010004 0001E504
	v_add_f32_e64 v5, v5, 1.0                                  // 00000000B49C: D1010005 0001E505
	v_add_f32_e64 v6, v6, 1.0                                  // 00000000B4A4: D1010006 0001E506
	v_add_f32_e64 v7, v7, 1.0                                  // 00000000B4AC: D1010007 0001E507
	v_rcp_f32_e32 v4, v4                                       // 00000000B4B4: 7E084504
	v_rcp_f32_e32 v5, v5                                       // 00000000B4B8: 7E0A4505
	v_rcp_f32_e32 v6, v6                                       // 00000000B4BC: 7E0C4506
	v_rcp_f32_e32 v7, v7                                       // 00000000B4C0: 7E0E4507
	v_mul_f32_e32 v92, v92, v4                                 // 00000000B4C4: 0AB8095C
	v_mul_f32_e32 v93, v93, v5                                 // 00000000B4C8: 0ABA0B5D
	v_mul_f32_e32 v94, v94, v6                                 // 00000000B4CC: 0ABC0D5E
	v_mul_f32_e32 v95, v95, v7                                 // 00000000B4D0: 0ABE0F5F
	v_mul_f32_e32 v92, v92, v172                               // 00000000B4D4: 0AB9595C
	v_mul_f32_e32 v93, v93, v173                               // 00000000B4D8: 0ABB5B5D
	v_mul_f32_e32 v94, v94, v174                               // 00000000B4DC: 0ABD5D5E
	v_mul_f32_e32 v95, v95, v175                               // 00000000B4E0: 0ABF5F5F
	v_mul_f32_e64 v4, -v96, s6                                 // 00000000B4E4: D1050004 20000D60
	v_mul_f32_e64 v5, -v97, s6                                 // 00000000B4EC: D1050005 20000D61
	v_mul_f32_e64 v6, -v98, s6                                 // 00000000B4F4: D1050006 20000D62
	v_mul_f32_e64 v7, -v99, s6                                 // 00000000B4FC: D1050007 20000D63
	v_exp_f32_e32 v4, v4                                       // 00000000B504: 7E084104
	v_exp_f32_e32 v5, v5                                       // 00000000B508: 7E0A4105
	v_exp_f32_e32 v6, v6                                       // 00000000B50C: 7E0C4106
	v_exp_f32_e32 v7, v7                                       // 00000000B510: 7E0E4107
	v_add_f32_e64 v4, v4, 1.0                                  // 00000000B514: D1010004 0001E504
	v_add_f32_e64 v5, v5, 1.0                                  // 00000000B51C: D1010005 0001E505
	v_add_f32_e64 v6, v6, 1.0                                  // 00000000B524: D1010006 0001E506
	v_add_f32_e64 v7, v7, 1.0                                  // 00000000B52C: D1010007 0001E507
	v_rcp_f32_e32 v4, v4                                       // 00000000B534: 7E084504
	v_rcp_f32_e32 v5, v5                                       // 00000000B538: 7E0A4505
	v_rcp_f32_e32 v6, v6                                       // 00000000B53C: 7E0C4506
	v_rcp_f32_e32 v7, v7                                       // 00000000B540: 7E0E4507
	v_mul_f32_e32 v96, v96, v4                                 // 00000000B544: 0AC00960
	v_mul_f32_e32 v97, v97, v5                                 // 00000000B548: 0AC20B61
	v_mul_f32_e32 v98, v98, v6                                 // 00000000B54C: 0AC40D62
	v_mul_f32_e32 v99, v99, v7                                 // 00000000B550: 0AC60F63
	v_mul_f32_e32 v96, v96, v176                               // 00000000B554: 0AC16160
	v_mul_f32_e32 v97, v97, v177                               // 00000000B558: 0AC36361
	v_mul_f32_e32 v98, v98, v178                               // 00000000B55C: 0AC56562
	v_mul_f32_e32 v99, v99, v179                               // 00000000B560: 0AC76763
	v_mul_f32_e64 v4, -v100, s6                                // 00000000B564: D1050004 20000D64
	v_mul_f32_e64 v5, -v101, s6                                // 00000000B56C: D1050005 20000D65
	v_mul_f32_e64 v6, -v102, s6                                // 00000000B574: D1050006 20000D66
	v_mul_f32_e64 v7, -v103, s6                                // 00000000B57C: D1050007 20000D67
	v_exp_f32_e32 v4, v4                                       // 00000000B584: 7E084104
	v_exp_f32_e32 v5, v5                                       // 00000000B588: 7E0A4105
	v_exp_f32_e32 v6, v6                                       // 00000000B58C: 7E0C4106
	v_exp_f32_e32 v7, v7                                       // 00000000B590: 7E0E4107
	v_add_f32_e64 v4, v4, 1.0                                  // 00000000B594: D1010004 0001E504
	v_add_f32_e64 v5, v5, 1.0                                  // 00000000B59C: D1010005 0001E505
	v_add_f32_e64 v6, v6, 1.0                                  // 00000000B5A4: D1010006 0001E506
	v_add_f32_e64 v7, v7, 1.0                                  // 00000000B5AC: D1010007 0001E507
	v_rcp_f32_e32 v4, v4                                       // 00000000B5B4: 7E084504
	v_rcp_f32_e32 v5, v5                                       // 00000000B5B8: 7E0A4505
	v_rcp_f32_e32 v6, v6                                       // 00000000B5BC: 7E0C4506
	v_rcp_f32_e32 v7, v7                                       // 00000000B5C0: 7E0E4507
	v_mul_f32_e32 v100, v100, v4                               // 00000000B5C4: 0AC80964
	v_mul_f32_e32 v101, v101, v5                               // 00000000B5C8: 0ACA0B65
	v_mul_f32_e32 v102, v102, v6                               // 00000000B5CC: 0ACC0D66
	v_mul_f32_e32 v103, v103, v7                               // 00000000B5D0: 0ACE0F67
	v_mul_f32_e32 v100, v100, v180                             // 00000000B5D4: 0AC96964
	v_mul_f32_e32 v101, v101, v181                             // 00000000B5D8: 0ACB6B65
	v_mul_f32_e32 v102, v102, v182                             // 00000000B5DC: 0ACD6D66
	v_mul_f32_e32 v103, v103, v183                             // 00000000B5E0: 0ACF6F67
	v_mul_f32_e64 v4, -v104, s6                                // 00000000B5E4: D1050004 20000D68
	v_mul_f32_e64 v5, -v105, s6                                // 00000000B5EC: D1050005 20000D69
	v_mul_f32_e64 v6, -v106, s6                                // 00000000B5F4: D1050006 20000D6A
	v_mul_f32_e64 v7, -v107, s6                                // 00000000B5FC: D1050007 20000D6B
	v_exp_f32_e32 v4, v4                                       // 00000000B604: 7E084104
	v_exp_f32_e32 v5, v5                                       // 00000000B608: 7E0A4105
	v_exp_f32_e32 v6, v6                                       // 00000000B60C: 7E0C4106
	v_exp_f32_e32 v7, v7                                       // 00000000B610: 7E0E4107
	v_add_f32_e64 v4, v4, 1.0                                  // 00000000B614: D1010004 0001E504
	v_add_f32_e64 v5, v5, 1.0                                  // 00000000B61C: D1010005 0001E505
	v_add_f32_e64 v6, v6, 1.0                                  // 00000000B624: D1010006 0001E506
	v_add_f32_e64 v7, v7, 1.0                                  // 00000000B62C: D1010007 0001E507
	v_rcp_f32_e32 v4, v4                                       // 00000000B634: 7E084504
	v_rcp_f32_e32 v5, v5                                       // 00000000B638: 7E0A4505
	v_rcp_f32_e32 v6, v6                                       // 00000000B63C: 7E0C4506
	v_rcp_f32_e32 v7, v7                                       // 00000000B640: 7E0E4507
	v_mul_f32_e32 v104, v104, v4                               // 00000000B644: 0AD00968
	v_mul_f32_e32 v105, v105, v5                               // 00000000B648: 0AD20B69
	v_mul_f32_e32 v106, v106, v6                               // 00000000B64C: 0AD40D6A
	v_mul_f32_e32 v107, v107, v7                               // 00000000B650: 0AD60F6B
	v_mul_f32_e32 v104, v104, v184                             // 00000000B654: 0AD17168
	v_mul_f32_e32 v105, v105, v185                             // 00000000B658: 0AD37369
	v_mul_f32_e32 v106, v106, v186                             // 00000000B65C: 0AD5756A
	v_mul_f32_e32 v107, v107, v187                             // 00000000B660: 0AD7776B
	v_mul_f32_e64 v4, -v108, s6                                // 00000000B664: D1050004 20000D6C
	v_mul_f32_e64 v5, -v109, s6                                // 00000000B66C: D1050005 20000D6D
	v_mul_f32_e64 v6, -v110, s6                                // 00000000B674: D1050006 20000D6E
	v_mul_f32_e64 v7, -v111, s6                                // 00000000B67C: D1050007 20000D6F
	v_exp_f32_e32 v4, v4                                       // 00000000B684: 7E084104
	v_exp_f32_e32 v5, v5                                       // 00000000B688: 7E0A4105
	v_exp_f32_e32 v6, v6                                       // 00000000B68C: 7E0C4106
	v_exp_f32_e32 v7, v7                                       // 00000000B690: 7E0E4107
	v_add_f32_e64 v4, v4, 1.0                                  // 00000000B694: D1010004 0001E504
	v_add_f32_e64 v5, v5, 1.0                                  // 00000000B69C: D1010005 0001E505
	v_add_f32_e64 v6, v6, 1.0                                  // 00000000B6A4: D1010006 0001E506
	v_add_f32_e64 v7, v7, 1.0                                  // 00000000B6AC: D1010007 0001E507
	v_rcp_f32_e32 v4, v4                                       // 00000000B6B4: 7E084504
	v_rcp_f32_e32 v5, v5                                       // 00000000B6B8: 7E0A4505
	v_rcp_f32_e32 v6, v6                                       // 00000000B6BC: 7E0C4506
	v_rcp_f32_e32 v7, v7                                       // 00000000B6C0: 7E0E4507
	v_mul_f32_e32 v108, v108, v4                               // 00000000B6C4: 0AD8096C
	v_mul_f32_e32 v109, v109, v5                               // 00000000B6C8: 0ADA0B6D
	v_mul_f32_e32 v110, v110, v6                               // 00000000B6CC: 0ADC0D6E
	v_mul_f32_e32 v111, v111, v7                               // 00000000B6D0: 0ADE0F6F
	v_mul_f32_e32 v108, v108, v188                             // 00000000B6D4: 0AD9796C
	v_mul_f32_e32 v109, v109, v189                             // 00000000B6D8: 0ADB7B6D
	v_mul_f32_e32 v110, v110, v190                             // 00000000B6DC: 0ADD7D6E
	v_mul_f32_e32 v111, v111, v191                             // 00000000B6E0: 0ADF7F6F
	v_mul_f32_e64 v4, -v112, s6                                // 00000000B6E4: D1050004 20000D70
	v_mul_f32_e64 v5, -v113, s6                                // 00000000B6EC: D1050005 20000D71
	v_mul_f32_e64 v6, -v114, s6                                // 00000000B6F4: D1050006 20000D72
	v_mul_f32_e64 v7, -v115, s6                                // 00000000B6FC: D1050007 20000D73
	v_exp_f32_e32 v4, v4                                       // 00000000B704: 7E084104
	v_exp_f32_e32 v5, v5                                       // 00000000B708: 7E0A4105
	v_exp_f32_e32 v6, v6                                       // 00000000B70C: 7E0C4106
	v_exp_f32_e32 v7, v7                                       // 00000000B710: 7E0E4107
	v_add_f32_e64 v4, v4, 1.0                                  // 00000000B714: D1010004 0001E504
	v_add_f32_e64 v5, v5, 1.0                                  // 00000000B71C: D1010005 0001E505
	v_add_f32_e64 v6, v6, 1.0                                  // 00000000B724: D1010006 0001E506
	v_add_f32_e64 v7, v7, 1.0                                  // 00000000B72C: D1010007 0001E507
	v_rcp_f32_e32 v4, v4                                       // 00000000B734: 7E084504
	v_rcp_f32_e32 v5, v5                                       // 00000000B738: 7E0A4505
	v_rcp_f32_e32 v6, v6                                       // 00000000B73C: 7E0C4506
	v_rcp_f32_e32 v7, v7                                       // 00000000B740: 7E0E4507
	v_mul_f32_e32 v112, v112, v4                               // 00000000B744: 0AE00970
	v_mul_f32_e32 v113, v113, v5                               // 00000000B748: 0AE20B71
	v_mul_f32_e32 v114, v114, v6                               // 00000000B74C: 0AE40D72
	v_mul_f32_e32 v115, v115, v7                               // 00000000B750: 0AE60F73
	v_mul_f32_e32 v112, v112, v192                             // 00000000B754: 0AE18170
	v_mul_f32_e32 v113, v113, v193                             // 00000000B758: 0AE38371
	v_mul_f32_e32 v114, v114, v194                             // 00000000B75C: 0AE58572
	v_mul_f32_e32 v115, v115, v195                             // 00000000B760: 0AE78773
	v_mul_f32_e64 v4, -v116, s6                                // 00000000B764: D1050004 20000D74
	v_mul_f32_e64 v5, -v117, s6                                // 00000000B76C: D1050005 20000D75
	v_mul_f32_e64 v6, -v118, s6                                // 00000000B774: D1050006 20000D76
	v_mul_f32_e64 v7, -v119, s6                                // 00000000B77C: D1050007 20000D77
	v_exp_f32_e32 v4, v4                                       // 00000000B784: 7E084104
	v_exp_f32_e32 v5, v5                                       // 00000000B788: 7E0A4105
	v_exp_f32_e32 v6, v6                                       // 00000000B78C: 7E0C4106
	v_exp_f32_e32 v7, v7                                       // 00000000B790: 7E0E4107
	v_add_f32_e64 v4, v4, 1.0                                  // 00000000B794: D1010004 0001E504
	v_add_f32_e64 v5, v5, 1.0                                  // 00000000B79C: D1010005 0001E505
	v_add_f32_e64 v6, v6, 1.0                                  // 00000000B7A4: D1010006 0001E506
	v_add_f32_e64 v7, v7, 1.0                                  // 00000000B7AC: D1010007 0001E507
	v_rcp_f32_e32 v4, v4                                       // 00000000B7B4: 7E084504
	v_rcp_f32_e32 v5, v5                                       // 00000000B7B8: 7E0A4505
	v_rcp_f32_e32 v6, v6                                       // 00000000B7BC: 7E0C4506
	v_rcp_f32_e32 v7, v7                                       // 00000000B7C0: 7E0E4507
	v_mul_f32_e32 v116, v116, v4                               // 00000000B7C4: 0AE80974
	v_mul_f32_e32 v117, v117, v5                               // 00000000B7C8: 0AEA0B75
	v_mul_f32_e32 v118, v118, v6                               // 00000000B7CC: 0AEC0D76
	v_mul_f32_e32 v119, v119, v7                               // 00000000B7D0: 0AEE0F77
	v_mul_f32_e32 v116, v116, v196                             // 00000000B7D4: 0AE98974
	v_mul_f32_e32 v117, v117, v197                             // 00000000B7D8: 0AEB8B75
	v_mul_f32_e32 v118, v118, v198                             // 00000000B7DC: 0AED8D76
	v_mul_f32_e32 v119, v119, v199                             // 00000000B7E0: 0AEF8F77
	v_mul_f32_e64 v4, -v120, s6                                // 00000000B7E4: D1050004 20000D78
	v_mul_f32_e64 v5, -v121, s6                                // 00000000B7EC: D1050005 20000D79
	v_mul_f32_e64 v6, -v122, s6                                // 00000000B7F4: D1050006 20000D7A
	v_mul_f32_e64 v7, -v123, s6                                // 00000000B7FC: D1050007 20000D7B
	v_exp_f32_e32 v4, v4                                       // 00000000B804: 7E084104
	v_exp_f32_e32 v5, v5                                       // 00000000B808: 7E0A4105
	v_exp_f32_e32 v6, v6                                       // 00000000B80C: 7E0C4106
	v_exp_f32_e32 v7, v7                                       // 00000000B810: 7E0E4107
	v_add_f32_e64 v4, v4, 1.0                                  // 00000000B814: D1010004 0001E504
	v_add_f32_e64 v5, v5, 1.0                                  // 00000000B81C: D1010005 0001E505
	v_add_f32_e64 v6, v6, 1.0                                  // 00000000B824: D1010006 0001E506
	v_add_f32_e64 v7, v7, 1.0                                  // 00000000B82C: D1010007 0001E507
	v_rcp_f32_e32 v4, v4                                       // 00000000B834: 7E084504
	v_rcp_f32_e32 v5, v5                                       // 00000000B838: 7E0A4505
	v_rcp_f32_e32 v6, v6                                       // 00000000B83C: 7E0C4506
	v_rcp_f32_e32 v7, v7                                       // 00000000B840: 7E0E4507
	v_mul_f32_e32 v120, v120, v4                               // 00000000B844: 0AF00978
	v_mul_f32_e32 v121, v121, v5                               // 00000000B848: 0AF20B79
	v_mul_f32_e32 v122, v122, v6                               // 00000000B84C: 0AF40D7A
	v_mul_f32_e32 v123, v123, v7                               // 00000000B850: 0AF60F7B
	v_mul_f32_e32 v120, v120, v200                             // 00000000B854: 0AF19178
	v_mul_f32_e32 v121, v121, v201                             // 00000000B858: 0AF39379
	v_mul_f32_e32 v122, v122, v202                             // 00000000B85C: 0AF5957A
	v_mul_f32_e32 v123, v123, v203                             // 00000000B860: 0AF7977B
	v_mul_f32_e64 v4, -v124, s6                                // 00000000B864: D1050004 20000D7C
	v_mul_f32_e64 v5, -v125, s6                                // 00000000B86C: D1050005 20000D7D
	v_mul_f32_e64 v6, -v126, s6                                // 00000000B874: D1050006 20000D7E
	v_mul_f32_e64 v7, -v127, s6                                // 00000000B87C: D1050007 20000D7F
	v_exp_f32_e32 v4, v4                                       // 00000000B884: 7E084104
	v_exp_f32_e32 v5, v5                                       // 00000000B888: 7E0A4105
	v_exp_f32_e32 v6, v6                                       // 00000000B88C: 7E0C4106
	v_exp_f32_e32 v7, v7                                       // 00000000B890: 7E0E4107
	v_add_f32_e64 v4, v4, 1.0                                  // 00000000B894: D1010004 0001E504
	v_add_f32_e64 v5, v5, 1.0                                  // 00000000B89C: D1010005 0001E505
	v_add_f32_e64 v6, v6, 1.0                                  // 00000000B8A4: D1010006 0001E506
	v_add_f32_e64 v7, v7, 1.0                                  // 00000000B8AC: D1010007 0001E507
	v_rcp_f32_e32 v4, v4                                       // 00000000B8B4: 7E084504
	v_rcp_f32_e32 v5, v5                                       // 00000000B8B8: 7E0A4505
	v_rcp_f32_e32 v6, v6                                       // 00000000B8BC: 7E0C4506
	v_rcp_f32_e32 v7, v7                                       // 00000000B8C0: 7E0E4507
	v_mul_f32_e32 v124, v124, v4                               // 00000000B8C4: 0AF8097C
	v_mul_f32_e32 v125, v125, v5                               // 00000000B8C8: 0AFA0B7D
	v_mul_f32_e32 v126, v126, v6                               // 00000000B8CC: 0AFC0D7E
	v_mul_f32_e32 v127, v127, v7                               // 00000000B8D0: 0AFE0F7F
	v_mul_f32_e32 v124, v124, v204                             // 00000000B8D4: 0AF9997C
	v_mul_f32_e32 v125, v125, v205                             // 00000000B8D8: 0AFB9B7D
	v_mul_f32_e32 v126, v126, v206                             // 00000000B8DC: 0AFD9D7E
	v_mul_f32_e32 v127, v127, v207                             // 00000000B8E0: 0AFF9F7F
	v_mul_f32_e64 v4, -v128, s6                                // 00000000B8E4: D1050004 20000D80
	v_mul_f32_e64 v5, -v129, s6                                // 00000000B8EC: D1050005 20000D81
	v_mul_f32_e64 v6, -v130, s6                                // 00000000B8F4: D1050006 20000D82
	v_mul_f32_e64 v7, -v131, s6                                // 00000000B8FC: D1050007 20000D83
	v_exp_f32_e32 v4, v4                                       // 00000000B904: 7E084104
	v_exp_f32_e32 v5, v5                                       // 00000000B908: 7E0A4105
	v_exp_f32_e32 v6, v6                                       // 00000000B90C: 7E0C4106
	v_exp_f32_e32 v7, v7                                       // 00000000B910: 7E0E4107
	v_add_f32_e64 v4, v4, 1.0                                  // 00000000B914: D1010004 0001E504
	v_add_f32_e64 v5, v5, 1.0                                  // 00000000B91C: D1010005 0001E505
	v_add_f32_e64 v6, v6, 1.0                                  // 00000000B924: D1010006 0001E506
	v_add_f32_e64 v7, v7, 1.0                                  // 00000000B92C: D1010007 0001E507
	v_rcp_f32_e32 v4, v4                                       // 00000000B934: 7E084504
	v_rcp_f32_e32 v5, v5                                       // 00000000B938: 7E0A4505
	v_rcp_f32_e32 v6, v6                                       // 00000000B93C: 7E0C4506
	v_rcp_f32_e32 v7, v7                                       // 00000000B940: 7E0E4507
	v_mul_f32_e32 v128, v128, v4                               // 00000000B944: 0B000980
	v_mul_f32_e32 v129, v129, v5                               // 00000000B948: 0B020B81
	v_mul_f32_e32 v130, v130, v6                               // 00000000B94C: 0B040D82
	v_mul_f32_e32 v131, v131, v7                               // 00000000B950: 0B060F83
	v_mul_f32_e32 v128, v128, v208                             // 00000000B954: 0B01A180
	v_mul_f32_e32 v129, v129, v209                             // 00000000B958: 0B03A381
	v_mul_f32_e32 v130, v130, v210                             // 00000000B95C: 0B05A582
	v_mul_f32_e32 v131, v131, v211                             // 00000000B960: 0B07A783
	v_mul_f32_e64 v4, -v132, s6                                // 00000000B964: D1050004 20000D84
	v_mul_f32_e64 v5, -v133, s6                                // 00000000B96C: D1050005 20000D85
	v_mul_f32_e64 v6, -v134, s6                                // 00000000B974: D1050006 20000D86
	v_mul_f32_e64 v7, -v135, s6                                // 00000000B97C: D1050007 20000D87
	v_exp_f32_e32 v4, v4                                       // 00000000B984: 7E084104
	v_exp_f32_e32 v5, v5                                       // 00000000B988: 7E0A4105
	v_exp_f32_e32 v6, v6                                       // 00000000B98C: 7E0C4106
	v_exp_f32_e32 v7, v7                                       // 00000000B990: 7E0E4107
	v_add_f32_e64 v4, v4, 1.0                                  // 00000000B994: D1010004 0001E504
	v_add_f32_e64 v5, v5, 1.0                                  // 00000000B99C: D1010005 0001E505
	v_add_f32_e64 v6, v6, 1.0                                  // 00000000B9A4: D1010006 0001E506
	v_add_f32_e64 v7, v7, 1.0                                  // 00000000B9AC: D1010007 0001E507
	v_rcp_f32_e32 v4, v4                                       // 00000000B9B4: 7E084504
	v_rcp_f32_e32 v5, v5                                       // 00000000B9B8: 7E0A4505
	v_rcp_f32_e32 v6, v6                                       // 00000000B9BC: 7E0C4506
	v_rcp_f32_e32 v7, v7                                       // 00000000B9C0: 7E0E4507
	v_mul_f32_e32 v132, v132, v4                               // 00000000B9C4: 0B080984
	v_mul_f32_e32 v133, v133, v5                               // 00000000B9C8: 0B0A0B85
	v_mul_f32_e32 v134, v134, v6                               // 00000000B9CC: 0B0C0D86
	v_mul_f32_e32 v135, v135, v7                               // 00000000B9D0: 0B0E0F87
	v_mul_f32_e32 v132, v132, v212                             // 00000000B9D4: 0B09A984
	v_mul_f32_e32 v133, v133, v213                             // 00000000B9D8: 0B0BAB85
	v_mul_f32_e32 v134, v134, v214                             // 00000000B9DC: 0B0DAD86
	v_mul_f32_e32 v135, v135, v215                             // 00000000B9E0: 0B0FAF87
	v_mul_f32_e64 v4, -v136, s6                                // 00000000B9E4: D1050004 20000D88
	v_mul_f32_e64 v5, -v137, s6                                // 00000000B9EC: D1050005 20000D89
	v_mul_f32_e64 v6, -v138, s6                                // 00000000B9F4: D1050006 20000D8A
	v_mul_f32_e64 v7, -v139, s6                                // 00000000B9FC: D1050007 20000D8B
	v_exp_f32_e32 v4, v4                                       // 00000000BA04: 7E084104
	v_exp_f32_e32 v5, v5                                       // 00000000BA08: 7E0A4105
	v_exp_f32_e32 v6, v6                                       // 00000000BA0C: 7E0C4106
	v_exp_f32_e32 v7, v7                                       // 00000000BA10: 7E0E4107
	v_add_f32_e64 v4, v4, 1.0                                  // 00000000BA14: D1010004 0001E504
	v_add_f32_e64 v5, v5, 1.0                                  // 00000000BA1C: D1010005 0001E505
	v_add_f32_e64 v6, v6, 1.0                                  // 00000000BA24: D1010006 0001E506
	v_add_f32_e64 v7, v7, 1.0                                  // 00000000BA2C: D1010007 0001E507
	v_rcp_f32_e32 v4, v4                                       // 00000000BA34: 7E084504
	v_rcp_f32_e32 v5, v5                                       // 00000000BA38: 7E0A4505
	v_rcp_f32_e32 v6, v6                                       // 00000000BA3C: 7E0C4506
	v_rcp_f32_e32 v7, v7                                       // 00000000BA40: 7E0E4507
	v_mul_f32_e32 v136, v136, v4                               // 00000000BA44: 0B100988
	v_mul_f32_e32 v137, v137, v5                               // 00000000BA48: 0B120B89
	v_mul_f32_e32 v138, v138, v6                               // 00000000BA4C: 0B140D8A
	v_mul_f32_e32 v139, v139, v7                               // 00000000BA50: 0B160F8B
	v_mul_f32_e32 v136, v136, v216                             // 00000000BA54: 0B11B188
	v_mul_f32_e32 v137, v137, v217                             // 00000000BA58: 0B13B389
	v_mul_f32_e32 v138, v138, v218                             // 00000000BA5C: 0B15B58A
	v_mul_f32_e32 v139, v139, v219                             // 00000000BA60: 0B17B78B
	v_mul_f32_e64 v4, -v140, s6                                // 00000000BA64: D1050004 20000D8C
	v_mul_f32_e64 v5, -v141, s6                                // 00000000BA6C: D1050005 20000D8D
	v_mul_f32_e64 v6, -v142, s6                                // 00000000BA74: D1050006 20000D8E
	v_mul_f32_e64 v7, -v143, s6                                // 00000000BA7C: D1050007 20000D8F
	v_exp_f32_e32 v4, v4                                       // 00000000BA84: 7E084104
	v_exp_f32_e32 v5, v5                                       // 00000000BA88: 7E0A4105
	v_exp_f32_e32 v6, v6                                       // 00000000BA8C: 7E0C4106
	v_exp_f32_e32 v7, v7                                       // 00000000BA90: 7E0E4107
	v_add_f32_e64 v4, v4, 1.0                                  // 00000000BA94: D1010004 0001E504
	v_add_f32_e64 v5, v5, 1.0                                  // 00000000BA9C: D1010005 0001E505
	v_add_f32_e64 v6, v6, 1.0                                  // 00000000BAA4: D1010006 0001E506
	v_add_f32_e64 v7, v7, 1.0                                  // 00000000BAAC: D1010007 0001E507
	v_rcp_f32_e32 v4, v4                                       // 00000000BAB4: 7E084504
	v_rcp_f32_e32 v5, v5                                       // 00000000BAB8: 7E0A4505
	v_rcp_f32_e32 v6, v6                                       // 00000000BABC: 7E0C4506
	v_rcp_f32_e32 v7, v7                                       // 00000000BAC0: 7E0E4507
	v_mul_f32_e32 v140, v140, v4                               // 00000000BAC4: 0B18098C
	v_mul_f32_e32 v141, v141, v5                               // 00000000BAC8: 0B1A0B8D
	v_mul_f32_e32 v142, v142, v6                               // 00000000BACC: 0B1C0D8E
	v_mul_f32_e32 v143, v143, v7                               // 00000000BAD0: 0B1E0F8F
	v_mul_f32_e32 v140, v140, v220                             // 00000000BAD4: 0B19B98C
	v_mul_f32_e32 v141, v141, v221                             // 00000000BAD8: 0B1BBB8D
	v_mul_f32_e32 v142, v142, v222                             // 00000000BADC: 0B1DBD8E
	v_mul_f32_e32 v143, v143, v223                             // 00000000BAE0: 0B1FBF8F

000000000000bae4 <label_243C>:
	v_cmp_u_f32_e64 s[46:47], v64, v64                         // 00000000BAE4: D048002E 00028140
	v_add3_u32 v16, v64, v19, 1                                // 00000000BAEC: D1FF0010 02062740
	v_cndmask_b32_e64 v4, v16, v18, s[46:47]                   // 00000000BAF4: D1000004 00BA2510
	v_cmp_u_f32_e64 s[46:47], v65, v65                         // 00000000BAFC: D048002E 00028341
	v_add3_u32 v16, v65, v19, 1                                // 00000000BB04: D1FF0010 02062741
	v_cndmask_b32_e64 v5, v16, v18, s[46:47]                   // 00000000BB0C: D1000005 00BA2510
	v_perm_b32 v64, v5, v4, s52                                // 00000000BB14: D1ED0040 00D20905
	v_cmp_u_f32_e64 s[46:47], v66, v66                         // 00000000BB1C: D048002E 00028542
	v_add3_u32 v16, v66, v19, 1                                // 00000000BB24: D1FF0010 02062742
	v_cndmask_b32_e64 v4, v16, v18, s[46:47]                   // 00000000BB2C: D1000004 00BA2510
	v_cmp_u_f32_e64 s[46:47], v67, v67                         // 00000000BB34: D048002E 00028743
	v_add3_u32 v16, v67, v19, 1                                // 00000000BB3C: D1FF0010 02062743
	v_cndmask_b32_e64 v5, v16, v18, s[46:47]                   // 00000000BB44: D1000005 00BA2510
	v_perm_b32 v65, v5, v4, s52                                // 00000000BB4C: D1ED0041 00D20905
	v_cmp_u_f32_e64 s[46:47], v68, v68                         // 00000000BB54: D048002E 00028944
	v_add3_u32 v16, v68, v19, 1                                // 00000000BB5C: D1FF0010 02062744
	v_cndmask_b32_e64 v4, v16, v18, s[46:47]                   // 00000000BB64: D1000004 00BA2510
	v_cmp_u_f32_e64 s[46:47], v69, v69                         // 00000000BB6C: D048002E 00028B45
	v_add3_u32 v16, v69, v19, 1                                // 00000000BB74: D1FF0010 02062745
	v_cndmask_b32_e64 v5, v16, v18, s[46:47]                   // 00000000BB7C: D1000005 00BA2510
	v_perm_b32 v66, v5, v4, s52                                // 00000000BB84: D1ED0042 00D20905
	v_cmp_u_f32_e64 s[46:47], v70, v70                         // 00000000BB8C: D048002E 00028D46
	v_add3_u32 v16, v70, v19, 1                                // 00000000BB94: D1FF0010 02062746
	v_cndmask_b32_e64 v4, v16, v18, s[46:47]                   // 00000000BB9C: D1000004 00BA2510
	v_cmp_u_f32_e64 s[46:47], v71, v71                         // 00000000BBA4: D048002E 00028F47
	v_add3_u32 v16, v71, v19, 1                                // 00000000BBAC: D1FF0010 02062747
	v_cndmask_b32_e64 v5, v16, v18, s[46:47]                   // 00000000BBB4: D1000005 00BA2510
	v_perm_b32 v67, v5, v4, s52                                // 00000000BBBC: D1ED0043 00D20905
	v_cmp_u_f32_e64 s[46:47], v72, v72                         // 00000000BBC4: D048002E 00029148
	v_add3_u32 v16, v72, v19, 1                                // 00000000BBCC: D1FF0010 02062748
	v_cndmask_b32_e64 v4, v16, v18, s[46:47]                   // 00000000BBD4: D1000004 00BA2510
	v_cmp_u_f32_e64 s[46:47], v73, v73                         // 00000000BBDC: D048002E 00029349
	v_add3_u32 v16, v73, v19, 1                                // 00000000BBE4: D1FF0010 02062749
	v_cndmask_b32_e64 v5, v16, v18, s[46:47]                   // 00000000BBEC: D1000005 00BA2510
	v_perm_b32 v68, v5, v4, s52                                // 00000000BBF4: D1ED0044 00D20905
	v_cmp_u_f32_e64 s[46:47], v74, v74                         // 00000000BBFC: D048002E 0002954A
	v_add3_u32 v16, v74, v19, 1                                // 00000000BC04: D1FF0010 0206274A
	v_cndmask_b32_e64 v4, v16, v18, s[46:47]                   // 00000000BC0C: D1000004 00BA2510
	v_cmp_u_f32_e64 s[46:47], v75, v75                         // 00000000BC14: D048002E 0002974B
	v_add3_u32 v16, v75, v19, 1                                // 00000000BC1C: D1FF0010 0206274B
	v_cndmask_b32_e64 v5, v16, v18, s[46:47]                   // 00000000BC24: D1000005 00BA2510
	v_perm_b32 v69, v5, v4, s52                                // 00000000BC2C: D1ED0045 00D20905
	v_cmp_u_f32_e64 s[46:47], v76, v76                         // 00000000BC34: D048002E 0002994C
	v_add3_u32 v16, v76, v19, 1                                // 00000000BC3C: D1FF0010 0206274C
	v_cndmask_b32_e64 v4, v16, v18, s[46:47]                   // 00000000BC44: D1000004 00BA2510
	v_cmp_u_f32_e64 s[46:47], v77, v77                         // 00000000BC4C: D048002E 00029B4D
	v_add3_u32 v16, v77, v19, 1                                // 00000000BC54: D1FF0010 0206274D
	v_cndmask_b32_e64 v5, v16, v18, s[46:47]                   // 00000000BC5C: D1000005 00BA2510
	v_perm_b32 v70, v5, v4, s52                                // 00000000BC64: D1ED0046 00D20905
	v_cmp_u_f32_e64 s[46:47], v78, v78                         // 00000000BC6C: D048002E 00029D4E
	v_add3_u32 v16, v78, v19, 1                                // 00000000BC74: D1FF0010 0206274E
	v_cndmask_b32_e64 v4, v16, v18, s[46:47]                   // 00000000BC7C: D1000004 00BA2510
	v_cmp_u_f32_e64 s[46:47], v79, v79                         // 00000000BC84: D048002E 00029F4F
	v_add3_u32 v16, v79, v19, 1                                // 00000000BC8C: D1FF0010 0206274F
	v_cndmask_b32_e64 v5, v16, v18, s[46:47]                   // 00000000BC94: D1000005 00BA2510
	v_perm_b32 v71, v5, v4, s52                                // 00000000BC9C: D1ED0047 00D20905
	v_cmp_u_f32_e64 s[46:47], v80, v80                         // 00000000BCA4: D048002E 0002A150
	v_add3_u32 v16, v80, v19, 1                                // 00000000BCAC: D1FF0010 02062750
	v_cndmask_b32_e64 v4, v16, v18, s[46:47]                   // 00000000BCB4: D1000004 00BA2510
	v_cmp_u_f32_e64 s[46:47], v81, v81                         // 00000000BCBC: D048002E 0002A351
	v_add3_u32 v16, v81, v19, 1                                // 00000000BCC4: D1FF0010 02062751
	v_cndmask_b32_e64 v5, v16, v18, s[46:47]                   // 00000000BCCC: D1000005 00BA2510
	v_perm_b32 v72, v5, v4, s52                                // 00000000BCD4: D1ED0048 00D20905
	v_cmp_u_f32_e64 s[46:47], v82, v82                         // 00000000BCDC: D048002E 0002A552
	v_add3_u32 v16, v82, v19, 1                                // 00000000BCE4: D1FF0010 02062752
	v_cndmask_b32_e64 v4, v16, v18, s[46:47]                   // 00000000BCEC: D1000004 00BA2510
	v_cmp_u_f32_e64 s[46:47], v83, v83                         // 00000000BCF4: D048002E 0002A753
	v_add3_u32 v16, v83, v19, 1                                // 00000000BCFC: D1FF0010 02062753
	v_cndmask_b32_e64 v5, v16, v18, s[46:47]                   // 00000000BD04: D1000005 00BA2510
	v_perm_b32 v73, v5, v4, s52                                // 00000000BD0C: D1ED0049 00D20905
	v_cmp_u_f32_e64 s[46:47], v84, v84                         // 00000000BD14: D048002E 0002A954
	v_add3_u32 v16, v84, v19, 1                                // 00000000BD1C: D1FF0010 02062754
	v_cndmask_b32_e64 v4, v16, v18, s[46:47]                   // 00000000BD24: D1000004 00BA2510
	v_cmp_u_f32_e64 s[46:47], v85, v85                         // 00000000BD2C: D048002E 0002AB55
	v_add3_u32 v16, v85, v19, 1                                // 00000000BD34: D1FF0010 02062755
	v_cndmask_b32_e64 v5, v16, v18, s[46:47]                   // 00000000BD3C: D1000005 00BA2510
	v_perm_b32 v74, v5, v4, s52                                // 00000000BD44: D1ED004A 00D20905
	v_cmp_u_f32_e64 s[46:47], v86, v86                         // 00000000BD4C: D048002E 0002AD56
	v_add3_u32 v16, v86, v19, 1                                // 00000000BD54: D1FF0010 02062756
	v_cndmask_b32_e64 v4, v16, v18, s[46:47]                   // 00000000BD5C: D1000004 00BA2510
	v_cmp_u_f32_e64 s[46:47], v87, v87                         // 00000000BD64: D048002E 0002AF57
	v_add3_u32 v16, v87, v19, 1                                // 00000000BD6C: D1FF0010 02062757
	v_cndmask_b32_e64 v5, v16, v18, s[46:47]                   // 00000000BD74: D1000005 00BA2510
	v_perm_b32 v75, v5, v4, s52                                // 00000000BD7C: D1ED004B 00D20905
	v_cmp_u_f32_e64 s[46:47], v88, v88                         // 00000000BD84: D048002E 0002B158
	v_add3_u32 v16, v88, v19, 1                                // 00000000BD8C: D1FF0010 02062758
	v_cndmask_b32_e64 v4, v16, v18, s[46:47]                   // 00000000BD94: D1000004 00BA2510
	v_cmp_u_f32_e64 s[46:47], v89, v89                         // 00000000BD9C: D048002E 0002B359
	v_add3_u32 v16, v89, v19, 1                                // 00000000BDA4: D1FF0010 02062759
	v_cndmask_b32_e64 v5, v16, v18, s[46:47]                   // 00000000BDAC: D1000005 00BA2510
	v_perm_b32 v76, v5, v4, s52                                // 00000000BDB4: D1ED004C 00D20905
	v_cmp_u_f32_e64 s[46:47], v90, v90                         // 00000000BDBC: D048002E 0002B55A
	v_add3_u32 v16, v90, v19, 1                                // 00000000BDC4: D1FF0010 0206275A
	v_cndmask_b32_e64 v4, v16, v18, s[46:47]                   // 00000000BDCC: D1000004 00BA2510
	v_cmp_u_f32_e64 s[46:47], v91, v91                         // 00000000BDD4: D048002E 0002B75B
	v_add3_u32 v16, v91, v19, 1                                // 00000000BDDC: D1FF0010 0206275B
	v_cndmask_b32_e64 v5, v16, v18, s[46:47]                   // 00000000BDE4: D1000005 00BA2510
	v_perm_b32 v77, v5, v4, s52                                // 00000000BDEC: D1ED004D 00D20905
	v_cmp_u_f32_e64 s[46:47], v92, v92                         // 00000000BDF4: D048002E 0002B95C
	v_add3_u32 v16, v92, v19, 1                                // 00000000BDFC: D1FF0010 0206275C
	v_cndmask_b32_e64 v4, v16, v18, s[46:47]                   // 00000000BE04: D1000004 00BA2510
	v_cmp_u_f32_e64 s[46:47], v93, v93                         // 00000000BE0C: D048002E 0002BB5D
	v_add3_u32 v16, v93, v19, 1                                // 00000000BE14: D1FF0010 0206275D
	v_cndmask_b32_e64 v5, v16, v18, s[46:47]                   // 00000000BE1C: D1000005 00BA2510
	v_perm_b32 v78, v5, v4, s52                                // 00000000BE24: D1ED004E 00D20905
	v_cmp_u_f32_e64 s[46:47], v94, v94                         // 00000000BE2C: D048002E 0002BD5E
	v_add3_u32 v16, v94, v19, 1                                // 00000000BE34: D1FF0010 0206275E
	v_cndmask_b32_e64 v4, v16, v18, s[46:47]                   // 00000000BE3C: D1000004 00BA2510
	v_cmp_u_f32_e64 s[46:47], v95, v95                         // 00000000BE44: D048002E 0002BF5F
	v_add3_u32 v16, v95, v19, 1                                // 00000000BE4C: D1FF0010 0206275F
	v_cndmask_b32_e64 v5, v16, v18, s[46:47]                   // 00000000BE54: D1000005 00BA2510
	v_perm_b32 v79, v5, v4, s52                                // 00000000BE5C: D1ED004F 00D20905
	v_cmp_u_f32_e64 s[46:47], v96, v96                         // 00000000BE64: D048002E 0002C160
	v_add3_u32 v16, v96, v19, 1                                // 00000000BE6C: D1FF0010 02062760
	v_cndmask_b32_e64 v4, v16, v18, s[46:47]                   // 00000000BE74: D1000004 00BA2510
	v_cmp_u_f32_e64 s[46:47], v97, v97                         // 00000000BE7C: D048002E 0002C361
	v_add3_u32 v16, v97, v19, 1                                // 00000000BE84: D1FF0010 02062761
	v_cndmask_b32_e64 v5, v16, v18, s[46:47]                   // 00000000BE8C: D1000005 00BA2510
	v_perm_b32 v80, v5, v4, s52                                // 00000000BE94: D1ED0050 00D20905
	v_cmp_u_f32_e64 s[46:47], v98, v98                         // 00000000BE9C: D048002E 0002C562
	v_add3_u32 v16, v98, v19, 1                                // 00000000BEA4: D1FF0010 02062762
	v_cndmask_b32_e64 v4, v16, v18, s[46:47]                   // 00000000BEAC: D1000004 00BA2510
	v_cmp_u_f32_e64 s[46:47], v99, v99                         // 00000000BEB4: D048002E 0002C763
	v_add3_u32 v16, v99, v19, 1                                // 00000000BEBC: D1FF0010 02062763
	v_cndmask_b32_e64 v5, v16, v18, s[46:47]                   // 00000000BEC4: D1000005 00BA2510
	v_perm_b32 v81, v5, v4, s52                                // 00000000BECC: D1ED0051 00D20905
	v_cmp_u_f32_e64 s[46:47], v100, v100                       // 00000000BED4: D048002E 0002C964
	v_add3_u32 v16, v100, v19, 1                               // 00000000BEDC: D1FF0010 02062764
	v_cndmask_b32_e64 v4, v16, v18, s[46:47]                   // 00000000BEE4: D1000004 00BA2510
	v_cmp_u_f32_e64 s[46:47], v101, v101                       // 00000000BEEC: D048002E 0002CB65
	v_add3_u32 v16, v101, v19, 1                               // 00000000BEF4: D1FF0010 02062765
	v_cndmask_b32_e64 v5, v16, v18, s[46:47]                   // 00000000BEFC: D1000005 00BA2510
	v_perm_b32 v82, v5, v4, s52                                // 00000000BF04: D1ED0052 00D20905
	v_cmp_u_f32_e64 s[46:47], v102, v102                       // 00000000BF0C: D048002E 0002CD66
	v_add3_u32 v16, v102, v19, 1                               // 00000000BF14: D1FF0010 02062766
	v_cndmask_b32_e64 v4, v16, v18, s[46:47]                   // 00000000BF1C: D1000004 00BA2510
	v_cmp_u_f32_e64 s[46:47], v103, v103                       // 00000000BF24: D048002E 0002CF67
	v_add3_u32 v16, v103, v19, 1                               // 00000000BF2C: D1FF0010 02062767
	v_cndmask_b32_e64 v5, v16, v18, s[46:47]                   // 00000000BF34: D1000005 00BA2510
	v_perm_b32 v83, v5, v4, s52                                // 00000000BF3C: D1ED0053 00D20905
	v_cmp_u_f32_e64 s[46:47], v104, v104                       // 00000000BF44: D048002E 0002D168
	v_add3_u32 v16, v104, v19, 1                               // 00000000BF4C: D1FF0010 02062768
	v_cndmask_b32_e64 v4, v16, v18, s[46:47]                   // 00000000BF54: D1000004 00BA2510
	v_cmp_u_f32_e64 s[46:47], v105, v105                       // 00000000BF5C: D048002E 0002D369
	v_add3_u32 v16, v105, v19, 1                               // 00000000BF64: D1FF0010 02062769
	v_cndmask_b32_e64 v5, v16, v18, s[46:47]                   // 00000000BF6C: D1000005 00BA2510
	v_perm_b32 v84, v5, v4, s52                                // 00000000BF74: D1ED0054 00D20905
	v_cmp_u_f32_e64 s[46:47], v106, v106                       // 00000000BF7C: D048002E 0002D56A
	v_add3_u32 v16, v106, v19, 1                               // 00000000BF84: D1FF0010 0206276A
	v_cndmask_b32_e64 v4, v16, v18, s[46:47]                   // 00000000BF8C: D1000004 00BA2510
	v_cmp_u_f32_e64 s[46:47], v107, v107                       // 00000000BF94: D048002E 0002D76B
	v_add3_u32 v16, v107, v19, 1                               // 00000000BF9C: D1FF0010 0206276B
	v_cndmask_b32_e64 v5, v16, v18, s[46:47]                   // 00000000BFA4: D1000005 00BA2510
	v_perm_b32 v85, v5, v4, s52                                // 00000000BFAC: D1ED0055 00D20905
	v_cmp_u_f32_e64 s[46:47], v108, v108                       // 00000000BFB4: D048002E 0002D96C
	v_add3_u32 v16, v108, v19, 1                               // 00000000BFBC: D1FF0010 0206276C
	v_cndmask_b32_e64 v4, v16, v18, s[46:47]                   // 00000000BFC4: D1000004 00BA2510
	v_cmp_u_f32_e64 s[46:47], v109, v109                       // 00000000BFCC: D048002E 0002DB6D
	v_add3_u32 v16, v109, v19, 1                               // 00000000BFD4: D1FF0010 0206276D
	v_cndmask_b32_e64 v5, v16, v18, s[46:47]                   // 00000000BFDC: D1000005 00BA2510
	v_perm_b32 v86, v5, v4, s52                                // 00000000BFE4: D1ED0056 00D20905
	v_cmp_u_f32_e64 s[46:47], v110, v110                       // 00000000BFEC: D048002E 0002DD6E
	v_add3_u32 v16, v110, v19, 1                               // 00000000BFF4: D1FF0010 0206276E
	v_cndmask_b32_e64 v4, v16, v18, s[46:47]                   // 00000000BFFC: D1000004 00BA2510
	v_cmp_u_f32_e64 s[46:47], v111, v111                       // 00000000C004: D048002E 0002DF6F
	v_add3_u32 v16, v111, v19, 1                               // 00000000C00C: D1FF0010 0206276F
	v_cndmask_b32_e64 v5, v16, v18, s[46:47]                   // 00000000C014: D1000005 00BA2510
	v_perm_b32 v87, v5, v4, s52                                // 00000000C01C: D1ED0057 00D20905
	v_cmp_u_f32_e64 s[46:47], v112, v112                       // 00000000C024: D048002E 0002E170
	v_add3_u32 v16, v112, v19, 1                               // 00000000C02C: D1FF0010 02062770
	v_cndmask_b32_e64 v4, v16, v18, s[46:47]                   // 00000000C034: D1000004 00BA2510
	v_cmp_u_f32_e64 s[46:47], v113, v113                       // 00000000C03C: D048002E 0002E371
	v_add3_u32 v16, v113, v19, 1                               // 00000000C044: D1FF0010 02062771
	v_cndmask_b32_e64 v5, v16, v18, s[46:47]                   // 00000000C04C: D1000005 00BA2510
	v_perm_b32 v88, v5, v4, s52                                // 00000000C054: D1ED0058 00D20905
	v_cmp_u_f32_e64 s[46:47], v114, v114                       // 00000000C05C: D048002E 0002E572
	v_add3_u32 v16, v114, v19, 1                               // 00000000C064: D1FF0010 02062772
	v_cndmask_b32_e64 v4, v16, v18, s[46:47]                   // 00000000C06C: D1000004 00BA2510
	v_cmp_u_f32_e64 s[46:47], v115, v115                       // 00000000C074: D048002E 0002E773
	v_add3_u32 v16, v115, v19, 1                               // 00000000C07C: D1FF0010 02062773
	v_cndmask_b32_e64 v5, v16, v18, s[46:47]                   // 00000000C084: D1000005 00BA2510
	v_perm_b32 v89, v5, v4, s52                                // 00000000C08C: D1ED0059 00D20905
	v_cmp_u_f32_e64 s[46:47], v116, v116                       // 00000000C094: D048002E 0002E974
	v_add3_u32 v16, v116, v19, 1                               // 00000000C09C: D1FF0010 02062774
	v_cndmask_b32_e64 v4, v16, v18, s[46:47]                   // 00000000C0A4: D1000004 00BA2510
	v_cmp_u_f32_e64 s[46:47], v117, v117                       // 00000000C0AC: D048002E 0002EB75
	v_add3_u32 v16, v117, v19, 1                               // 00000000C0B4: D1FF0010 02062775
	v_cndmask_b32_e64 v5, v16, v18, s[46:47]                   // 00000000C0BC: D1000005 00BA2510
	v_perm_b32 v90, v5, v4, s52                                // 00000000C0C4: D1ED005A 00D20905
	v_cmp_u_f32_e64 s[46:47], v118, v118                       // 00000000C0CC: D048002E 0002ED76
	v_add3_u32 v16, v118, v19, 1                               // 00000000C0D4: D1FF0010 02062776
	v_cndmask_b32_e64 v4, v16, v18, s[46:47]                   // 00000000C0DC: D1000004 00BA2510
	v_cmp_u_f32_e64 s[46:47], v119, v119                       // 00000000C0E4: D048002E 0002EF77
	v_add3_u32 v16, v119, v19, 1                               // 00000000C0EC: D1FF0010 02062777
	v_cndmask_b32_e64 v5, v16, v18, s[46:47]                   // 00000000C0F4: D1000005 00BA2510
	v_perm_b32 v91, v5, v4, s52                                // 00000000C0FC: D1ED005B 00D20905
	v_cmp_u_f32_e64 s[46:47], v120, v120                       // 00000000C104: D048002E 0002F178
	v_add3_u32 v16, v120, v19, 1                               // 00000000C10C: D1FF0010 02062778
	v_cndmask_b32_e64 v4, v16, v18, s[46:47]                   // 00000000C114: D1000004 00BA2510
	v_cmp_u_f32_e64 s[46:47], v121, v121                       // 00000000C11C: D048002E 0002F379
	v_add3_u32 v16, v121, v19, 1                               // 00000000C124: D1FF0010 02062779
	v_cndmask_b32_e64 v5, v16, v18, s[46:47]                   // 00000000C12C: D1000005 00BA2510
	v_perm_b32 v92, v5, v4, s52                                // 00000000C134: D1ED005C 00D20905
	v_cmp_u_f32_e64 s[46:47], v122, v122                       // 00000000C13C: D048002E 0002F57A
	v_add3_u32 v16, v122, v19, 1                               // 00000000C144: D1FF0010 0206277A
	v_cndmask_b32_e64 v4, v16, v18, s[46:47]                   // 00000000C14C: D1000004 00BA2510
	v_cmp_u_f32_e64 s[46:47], v123, v123                       // 00000000C154: D048002E 0002F77B
	v_add3_u32 v16, v123, v19, 1                               // 00000000C15C: D1FF0010 0206277B
	v_cndmask_b32_e64 v5, v16, v18, s[46:47]                   // 00000000C164: D1000005 00BA2510
	v_perm_b32 v93, v5, v4, s52                                // 00000000C16C: D1ED005D 00D20905
	v_cmp_u_f32_e64 s[46:47], v124, v124                       // 00000000C174: D048002E 0002F97C
	v_add3_u32 v16, v124, v19, 1                               // 00000000C17C: D1FF0010 0206277C
	v_cndmask_b32_e64 v4, v16, v18, s[46:47]                   // 00000000C184: D1000004 00BA2510
	v_cmp_u_f32_e64 s[46:47], v125, v125                       // 00000000C18C: D048002E 0002FB7D
	v_add3_u32 v16, v125, v19, 1                               // 00000000C194: D1FF0010 0206277D
	v_cndmask_b32_e64 v5, v16, v18, s[46:47]                   // 00000000C19C: D1000005 00BA2510
	v_perm_b32 v94, v5, v4, s52                                // 00000000C1A4: D1ED005E 00D20905
	v_cmp_u_f32_e64 s[46:47], v126, v126                       // 00000000C1AC: D048002E 0002FD7E
	v_add3_u32 v16, v126, v19, 1                               // 00000000C1B4: D1FF0010 0206277E
	v_cndmask_b32_e64 v4, v16, v18, s[46:47]                   // 00000000C1BC: D1000004 00BA2510
	v_cmp_u_f32_e64 s[46:47], v127, v127                       // 00000000C1C4: D048002E 0002FF7F
	v_add3_u32 v16, v127, v19, 1                               // 00000000C1CC: D1FF0010 0206277F
	v_cndmask_b32_e64 v5, v16, v18, s[46:47]                   // 00000000C1D4: D1000005 00BA2510
	v_perm_b32 v95, v5, v4, s52                                // 00000000C1DC: D1ED005F 00D20905
	v_cmp_u_f32_e64 s[46:47], v128, v128                       // 00000000C1E4: D048002E 00030180
	v_add3_u32 v16, v128, v19, 1                               // 00000000C1EC: D1FF0010 02062780
	v_cndmask_b32_e64 v4, v16, v18, s[46:47]                   // 00000000C1F4: D1000004 00BA2510
	v_cmp_u_f32_e64 s[46:47], v129, v129                       // 00000000C1FC: D048002E 00030381
	v_add3_u32 v16, v129, v19, 1                               // 00000000C204: D1FF0010 02062781
	v_cndmask_b32_e64 v5, v16, v18, s[46:47]                   // 00000000C20C: D1000005 00BA2510
	v_perm_b32 v96, v5, v4, s52                                // 00000000C214: D1ED0060 00D20905
	v_cmp_u_f32_e64 s[46:47], v130, v130                       // 00000000C21C: D048002E 00030582
	v_add3_u32 v16, v130, v19, 1                               // 00000000C224: D1FF0010 02062782
	v_cndmask_b32_e64 v4, v16, v18, s[46:47]                   // 00000000C22C: D1000004 00BA2510
	v_cmp_u_f32_e64 s[46:47], v131, v131                       // 00000000C234: D048002E 00030783
	v_add3_u32 v16, v131, v19, 1                               // 00000000C23C: D1FF0010 02062783
	v_cndmask_b32_e64 v5, v16, v18, s[46:47]                   // 00000000C244: D1000005 00BA2510
	v_perm_b32 v97, v5, v4, s52                                // 00000000C24C: D1ED0061 00D20905
	v_cmp_u_f32_e64 s[46:47], v132, v132                       // 00000000C254: D048002E 00030984
	v_add3_u32 v16, v132, v19, 1                               // 00000000C25C: D1FF0010 02062784
	v_cndmask_b32_e64 v4, v16, v18, s[46:47]                   // 00000000C264: D1000004 00BA2510
	v_cmp_u_f32_e64 s[46:47], v133, v133                       // 00000000C26C: D048002E 00030B85
	v_add3_u32 v16, v133, v19, 1                               // 00000000C274: D1FF0010 02062785
	v_cndmask_b32_e64 v5, v16, v18, s[46:47]                   // 00000000C27C: D1000005 00BA2510
	v_perm_b32 v98, v5, v4, s52                                // 00000000C284: D1ED0062 00D20905
	v_cmp_u_f32_e64 s[46:47], v134, v134                       // 00000000C28C: D048002E 00030D86
	v_add3_u32 v16, v134, v19, 1                               // 00000000C294: D1FF0010 02062786
	v_cndmask_b32_e64 v4, v16, v18, s[46:47]                   // 00000000C29C: D1000004 00BA2510
	v_cmp_u_f32_e64 s[46:47], v135, v135                       // 00000000C2A4: D048002E 00030F87
	v_add3_u32 v16, v135, v19, 1                               // 00000000C2AC: D1FF0010 02062787
	v_cndmask_b32_e64 v5, v16, v18, s[46:47]                   // 00000000C2B4: D1000005 00BA2510
	v_perm_b32 v99, v5, v4, s52                                // 00000000C2BC: D1ED0063 00D20905
	v_cmp_u_f32_e64 s[46:47], v136, v136                       // 00000000C2C4: D048002E 00031188
	v_add3_u32 v16, v136, v19, 1                               // 00000000C2CC: D1FF0010 02062788
	v_cndmask_b32_e64 v4, v16, v18, s[46:47]                   // 00000000C2D4: D1000004 00BA2510
	v_cmp_u_f32_e64 s[46:47], v137, v137                       // 00000000C2DC: D048002E 00031389
	v_add3_u32 v16, v137, v19, 1                               // 00000000C2E4: D1FF0010 02062789
	v_cndmask_b32_e64 v5, v16, v18, s[46:47]                   // 00000000C2EC: D1000005 00BA2510
	v_perm_b32 v100, v5, v4, s52                               // 00000000C2F4: D1ED0064 00D20905
	v_cmp_u_f32_e64 s[46:47], v138, v138                       // 00000000C2FC: D048002E 0003158A
	v_add3_u32 v16, v138, v19, 1                               // 00000000C304: D1FF0010 0206278A
	v_cndmask_b32_e64 v4, v16, v18, s[46:47]                   // 00000000C30C: D1000004 00BA2510
	v_cmp_u_f32_e64 s[46:47], v139, v139                       // 00000000C314: D048002E 0003178B
	v_add3_u32 v16, v139, v19, 1                               // 00000000C31C: D1FF0010 0206278B
	v_cndmask_b32_e64 v5, v16, v18, s[46:47]                   // 00000000C324: D1000005 00BA2510
	v_perm_b32 v101, v5, v4, s52                               // 00000000C32C: D1ED0065 00D20905
	v_cmp_u_f32_e64 s[46:47], v140, v140                       // 00000000C334: D048002E 0003198C
	v_add3_u32 v16, v140, v19, 1                               // 00000000C33C: D1FF0010 0206278C
	v_cndmask_b32_e64 v4, v16, v18, s[46:47]                   // 00000000C344: D1000004 00BA2510
	v_cmp_u_f32_e64 s[46:47], v141, v141                       // 00000000C34C: D048002E 00031B8D
	v_add3_u32 v16, v141, v19, 1                               // 00000000C354: D1FF0010 0206278D
	v_cndmask_b32_e64 v5, v16, v18, s[46:47]                   // 00000000C35C: D1000005 00BA2510
	v_perm_b32 v102, v5, v4, s52                               // 00000000C364: D1ED0066 00D20905
	v_cmp_u_f32_e64 s[46:47], v142, v142                       // 00000000C36C: D048002E 00031D8E
	v_add3_u32 v16, v142, v19, 1                               // 00000000C374: D1FF0010 0206278E
	v_cndmask_b32_e64 v4, v16, v18, s[46:47]                   // 00000000C37C: D1000004 00BA2510
	v_cmp_u_f32_e64 s[46:47], v143, v143                       // 00000000C384: D048002E 00031F8F
	v_add3_u32 v16, v143, v19, 1                               // 00000000C38C: D1FF0010 0206278F
	v_cndmask_b32_e64 v5, v16, v18, s[46:47]                   // 00000000C394: D1000005 00BA2510
	v_perm_b32 v103, v5, v4, s52                               // 00000000C39C: D1ED0067 00D20905
	ds_write_b64 v20, v[64:65]                                 // 00000000C3A4: D89A0000 00004014
	ds_write_b64 v20, v[66:67] offset:8704                     // 00000000C3AC: D89A2200 00004214
	ds_write_b64 v20, v[68:69] offset:17408                    // 00000000C3B4: D89A4400 00004414
	ds_write_b64 v20, v[70:71] offset:26112                    // 00000000C3BC: D89A6600 00004614
	ds_write_b64 v20, v[72:73] offset:34816                    // 00000000C3C4: D89A8800 00004814
	ds_write_b64 v20, v[74:75] offset:2176                     // 00000000C3CC: D89A0880 00004A14
	ds_write_b64 v20, v[76:77] offset:10880                    // 00000000C3D4: D89A2A80 00004C14
	ds_write_b64 v20, v[78:79] offset:19584                    // 00000000C3DC: D89A4C80 00004E14
	ds_write_b64 v20, v[80:81] offset:28288                    // 00000000C3E4: D89A6E80 00005014
	ds_write_b64 v20, v[82:83] offset:36992                    // 00000000C3EC: D89A9080 00005214
	ds_write_b64 v20, v[84:85] offset:4352                     // 00000000C3F4: D89A1100 00005414
	ds_write_b64 v20, v[86:87] offset:13056                    // 00000000C3FC: D89A3300 00005614
	ds_write_b64 v20, v[88:89] offset:21760                    // 00000000C404: D89A5500 00005814
	ds_write_b64 v20, v[90:91] offset:30464                    // 00000000C40C: D89A7700 00005A14
	ds_write_b64 v20, v[92:93] offset:39168                    // 00000000C414: D89A9900 00005C14
	ds_write_b64 v20, v[94:95] offset:6528                     // 00000000C41C: D89A1980 00005E14
	ds_write_b64 v20, v[96:97] offset:15232                    // 00000000C424: D89A3B80 00006014
	ds_write_b64 v20, v[98:99] offset:23936                    // 00000000C42C: D89A5D80 00006214
	ds_write_b64 v20, v[100:101] offset:32640                  // 00000000C434: D89A7F80 00006414
	ds_write_b64 v20, v[102:103] offset:41344                  // 00000000C43C: D89AA180 00006614
	v_lshrrev_b32_e32 v4, 5, v0                                // 00000000C444: 20080085
	v_xor_b32_e32 v5, 1, v4                                    // 00000000C448: 2A0A0881
	s_mul_i32 s60, s65, 2                                      // 00000000C44C: 923C8241
	s_cmp_eq_u32 s88, 0                                        // 00000000C450: BF068058
	s_cselect_b32 s61, 1, 4                                    // 00000000C454: 853D8481
	s_mul_i32 s60, s61, s60                                    // 00000000C458: 923C3C3D
	v_readlane_b32 s82, v3, 0                                  // 00000000C45C: D2890052 00010103
	s_lshr_b32 s61, s82, 24                                    // 00000000C464: 8F3D9852
	s_and_b32 s82, s82, 0xffffff                               // 00000000C468: 8652FF52 00FFFFFF
	s_mul_i32 s82, s82, s71                                    // 00000000C470: 92524752
	s_mul_i32 s61, s60, s61                                    // 00000000C474: 923D3D3C
	s_add_u32 s82, s82, s61                                    // 00000000C478: 80523D52
	v_mul_lo_u32 v6, v5, s82                                   // 00000000C47C: D2850006 0000A505
	v_readlane_b32 s82, v3, 1                                  // 00000000C484: D2890052 00010303
	s_lshr_b32 s61, s82, 24                                    // 00000000C48C: 8F3D9852
	s_and_b32 s82, s82, 0xffffff                               // 00000000C490: 8652FF52 00FFFFFF
	s_mul_i32 s82, s82, s71                                    // 00000000C498: 92524752
	s_mul_i32 s61, s60, s61                                    // 00000000C49C: 923D3D3C
	s_add_u32 s82, s82, s61                                    // 00000000C4A0: 80523D52
	v_mul_lo_u32 v7, v4, s82                                   // 00000000C4A4: D2850007 0000A504
	v_add_u32_e32 v48, v6, v7                                  // 00000000C4AC: 68600F06
	v_readlane_b32 s82, v3, 2                                  // 00000000C4B0: D2890052 00010503
	s_lshr_b32 s61, s82, 24                                    // 00000000C4B8: 8F3D9852
	s_and_b32 s82, s82, 0xffffff                               // 00000000C4BC: 8652FF52 00FFFFFF
	s_mul_i32 s82, s82, s71                                    // 00000000C4C4: 92524752
	s_mul_i32 s61, s60, s61                                    // 00000000C4C8: 923D3D3C
	s_add_u32 s82, s82, s61                                    // 00000000C4CC: 80523D52
	v_mul_lo_u32 v6, v5, s82                                   // 00000000C4D0: D2850006 0000A505
	v_readlane_b32 s82, v3, 3                                  // 00000000C4D8: D2890052 00010703
	s_lshr_b32 s61, s82, 24                                    // 00000000C4E0: 8F3D9852
	s_and_b32 s82, s82, 0xffffff                               // 00000000C4E4: 8652FF52 00FFFFFF
	s_mul_i32 s82, s82, s71                                    // 00000000C4EC: 92524752
	s_mul_i32 s61, s60, s61                                    // 00000000C4F0: 923D3D3C
	s_add_u32 s82, s82, s61                                    // 00000000C4F4: 80523D52
	v_mul_lo_u32 v7, v4, s82                                   // 00000000C4F8: D2850007 0000A504
	v_add_u32_e32 v49, v6, v7                                  // 00000000C500: 68620F06
	v_readlane_b32 s82, v3, 4                                  // 00000000C504: D2890052 00010903
	s_lshr_b32 s61, s82, 24                                    // 00000000C50C: 8F3D9852
	s_and_b32 s82, s82, 0xffffff                               // 00000000C510: 8652FF52 00FFFFFF
	s_mul_i32 s82, s82, s71                                    // 00000000C518: 92524752
	s_mul_i32 s61, s60, s61                                    // 00000000C51C: 923D3D3C
	s_add_u32 s82, s82, s61                                    // 00000000C520: 80523D52
	v_mul_lo_u32 v6, v5, s82                                   // 00000000C524: D2850006 0000A505
	v_readlane_b32 s82, v3, 5                                  // 00000000C52C: D2890052 00010B03
	s_lshr_b32 s61, s82, 24                                    // 00000000C534: 8F3D9852
	s_and_b32 s82, s82, 0xffffff                               // 00000000C538: 8652FF52 00FFFFFF
	s_mul_i32 s82, s82, s71                                    // 00000000C540: 92524752
	s_mul_i32 s61, s60, s61                                    // 00000000C544: 923D3D3C
	s_add_u32 s82, s82, s61                                    // 00000000C548: 80523D52
	v_mul_lo_u32 v7, v4, s82                                   // 00000000C54C: D2850007 0000A504
	v_add_u32_e32 v50, v6, v7                                  // 00000000C554: 68640F06
	v_readlane_b32 s82, v3, 6                                  // 00000000C558: D2890052 00010D03
	s_lshr_b32 s61, s82, 24                                    // 00000000C560: 8F3D9852
	s_and_b32 s82, s82, 0xffffff                               // 00000000C564: 8652FF52 00FFFFFF
	s_mul_i32 s82, s82, s71                                    // 00000000C56C: 92524752
	s_mul_i32 s61, s60, s61                                    // 00000000C570: 923D3D3C
	s_add_u32 s82, s82, s61                                    // 00000000C574: 80523D52
	v_mul_lo_u32 v6, v5, s82                                   // 00000000C578: D2850006 0000A505
	v_readlane_b32 s82, v3, 7                                  // 00000000C580: D2890052 00010F03
	s_lshr_b32 s61, s82, 24                                    // 00000000C588: 8F3D9852
	s_and_b32 s82, s82, 0xffffff                               // 00000000C58C: 8652FF52 00FFFFFF
	s_mul_i32 s82, s82, s71                                    // 00000000C594: 92524752
	s_mul_i32 s61, s60, s61                                    // 00000000C598: 923D3D3C
	s_add_u32 s82, s82, s61                                    // 00000000C59C: 80523D52
	v_mul_lo_u32 v7, v4, s82                                   // 00000000C5A0: D2850007 0000A504
	v_add_u32_e32 v51, v6, v7                                  // 00000000C5A8: 68660F06
	v_readlane_b32 s82, v3, 8                                  // 00000000C5AC: D2890052 00011103
	s_lshr_b32 s61, s82, 24                                    // 00000000C5B4: 8F3D9852
	s_and_b32 s82, s82, 0xffffff                               // 00000000C5B8: 8652FF52 00FFFFFF
	s_mul_i32 s82, s82, s71                                    // 00000000C5C0: 92524752
	s_mul_i32 s61, s60, s61                                    // 00000000C5C4: 923D3D3C
	s_add_u32 s82, s82, s61                                    // 00000000C5C8: 80523D52
	v_mul_lo_u32 v6, v5, s82                                   // 00000000C5CC: D2850006 0000A505
	v_readlane_b32 s82, v3, 9                                  // 00000000C5D4: D2890052 00011303
	s_lshr_b32 s61, s82, 24                                    // 00000000C5DC: 8F3D9852
	s_and_b32 s82, s82, 0xffffff                               // 00000000C5E0: 8652FF52 00FFFFFF
	s_mul_i32 s82, s82, s71                                    // 00000000C5E8: 92524752
	s_mul_i32 s61, s60, s61                                    // 00000000C5EC: 923D3D3C
	s_add_u32 s82, s82, s61                                    // 00000000C5F0: 80523D52
	v_mul_lo_u32 v7, v4, s82                                   // 00000000C5F4: D2850007 0000A504
	v_add_u32_e32 v52, v6, v7                                  // 00000000C5FC: 68680F06
	v_readlane_b32 s82, v3, 10                                 // 00000000C600: D2890052 00011503
	s_lshr_b32 s61, s82, 24                                    // 00000000C608: 8F3D9852
	s_and_b32 s82, s82, 0xffffff                               // 00000000C60C: 8652FF52 00FFFFFF
	s_mul_i32 s82, s82, s71                                    // 00000000C614: 92524752
	s_mul_i32 s61, s60, s61                                    // 00000000C618: 923D3D3C
	s_add_u32 s82, s82, s61                                    // 00000000C61C: 80523D52
	v_mul_lo_u32 v6, v5, s82                                   // 00000000C620: D2850006 0000A505
	v_readlane_b32 s82, v3, 11                                 // 00000000C628: D2890052 00011703
	s_lshr_b32 s61, s82, 24                                    // 00000000C630: 8F3D9852
	s_and_b32 s82, s82, 0xffffff                               // 00000000C634: 8652FF52 00FFFFFF
	s_mul_i32 s82, s82, s71                                    // 00000000C63C: 92524752
	s_mul_i32 s61, s60, s61                                    // 00000000C640: 923D3D3C
	s_add_u32 s82, s82, s61                                    // 00000000C644: 80523D52
	v_mul_lo_u32 v7, v4, s82                                   // 00000000C648: D2850007 0000A504
	v_add_u32_e32 v53, v6, v7                                  // 00000000C650: 686A0F06
	v_readlane_b32 s82, v3, 12                                 // 00000000C654: D2890052 00011903
	s_lshr_b32 s61, s82, 24                                    // 00000000C65C: 8F3D9852
	s_and_b32 s82, s82, 0xffffff                               // 00000000C660: 8652FF52 00FFFFFF
	s_mul_i32 s82, s82, s71                                    // 00000000C668: 92524752
	s_mul_i32 s61, s60, s61                                    // 00000000C66C: 923D3D3C
	s_add_u32 s82, s82, s61                                    // 00000000C670: 80523D52
	v_mul_lo_u32 v6, v5, s82                                   // 00000000C674: D2850006 0000A505
	v_readlane_b32 s82, v3, 13                                 // 00000000C67C: D2890052 00011B03
	s_lshr_b32 s61, s82, 24                                    // 00000000C684: 8F3D9852
	s_and_b32 s82, s82, 0xffffff                               // 00000000C688: 8652FF52 00FFFFFF
	s_mul_i32 s82, s82, s71                                    // 00000000C690: 92524752
	s_mul_i32 s61, s60, s61                                    // 00000000C694: 923D3D3C
	s_add_u32 s82, s82, s61                                    // 00000000C698: 80523D52
	v_mul_lo_u32 v7, v4, s82                                   // 00000000C69C: D2850007 0000A504
	v_add_u32_e32 v54, v6, v7                                  // 00000000C6A4: 686C0F06
	v_readlane_b32 s82, v3, 14                                 // 00000000C6A8: D2890052 00011D03
	s_lshr_b32 s61, s82, 24                                    // 00000000C6B0: 8F3D9852
	s_and_b32 s82, s82, 0xffffff                               // 00000000C6B4: 8652FF52 00FFFFFF
	s_mul_i32 s82, s82, s71                                    // 00000000C6BC: 92524752
	s_mul_i32 s61, s60, s61                                    // 00000000C6C0: 923D3D3C
	s_add_u32 s82, s82, s61                                    // 00000000C6C4: 80523D52
	v_mul_lo_u32 v6, v5, s82                                   // 00000000C6C8: D2850006 0000A505
	v_readlane_b32 s82, v3, 15                                 // 00000000C6D0: D2890052 00011F03
	s_lshr_b32 s61, s82, 24                                    // 00000000C6D8: 8F3D9852
	s_and_b32 s82, s82, 0xffffff                               // 00000000C6DC: 8652FF52 00FFFFFF
	s_mul_i32 s82, s82, s71                                    // 00000000C6E4: 92524752
	s_mul_i32 s61, s60, s61                                    // 00000000C6E8: 923D3D3C
	s_add_u32 s82, s82, s61                                    // 00000000C6EC: 80523D52
	v_mul_lo_u32 v7, v4, s82                                   // 00000000C6F0: D2850007 0000A504
	v_add_u32_e32 v55, v6, v7                                  // 00000000C6F8: 686E0F06
	v_readlane_b32 s82, v3, 16                                 // 00000000C6FC: D2890052 00012103
	s_lshr_b32 s61, s82, 24                                    // 00000000C704: 8F3D9852
	s_and_b32 s82, s82, 0xffffff                               // 00000000C708: 8652FF52 00FFFFFF
	s_mul_i32 s82, s82, s71                                    // 00000000C710: 92524752
	s_mul_i32 s61, s60, s61                                    // 00000000C714: 923D3D3C
	s_add_u32 s82, s82, s61                                    // 00000000C718: 80523D52
	v_mul_lo_u32 v6, v5, s82                                   // 00000000C71C: D2850006 0000A505
	v_readlane_b32 s82, v3, 17                                 // 00000000C724: D2890052 00012303
	s_lshr_b32 s61, s82, 24                                    // 00000000C72C: 8F3D9852
	s_and_b32 s82, s82, 0xffffff                               // 00000000C730: 8652FF52 00FFFFFF
	s_mul_i32 s82, s82, s71                                    // 00000000C738: 92524752
	s_mul_i32 s61, s60, s61                                    // 00000000C73C: 923D3D3C
	s_add_u32 s82, s82, s61                                    // 00000000C740: 80523D52
	v_mul_lo_u32 v7, v4, s82                                   // 00000000C744: D2850007 0000A504
	v_add_u32_e32 v56, v6, v7                                  // 00000000C74C: 68700F06
	v_readlane_b32 s82, v3, 18                                 // 00000000C750: D2890052 00012503
	s_lshr_b32 s61, s82, 24                                    // 00000000C758: 8F3D9852
	s_and_b32 s82, s82, 0xffffff                               // 00000000C75C: 8652FF52 00FFFFFF
	s_mul_i32 s82, s82, s71                                    // 00000000C764: 92524752
	s_mul_i32 s61, s60, s61                                    // 00000000C768: 923D3D3C
	s_add_u32 s82, s82, s61                                    // 00000000C76C: 80523D52
	v_mul_lo_u32 v6, v5, s82                                   // 00000000C770: D2850006 0000A505
	v_readlane_b32 s82, v3, 19                                 // 00000000C778: D2890052 00012703
	s_lshr_b32 s61, s82, 24                                    // 00000000C780: 8F3D9852
	s_and_b32 s82, s82, 0xffffff                               // 00000000C784: 8652FF52 00FFFFFF
	s_mul_i32 s82, s82, s71                                    // 00000000C78C: 92524752
	s_mul_i32 s61, s60, s61                                    // 00000000C790: 923D3D3C
	s_add_u32 s82, s82, s61                                    // 00000000C794: 80523D52
	v_mul_lo_u32 v7, v4, s82                                   // 00000000C798: D2850007 0000A504
	v_add_u32_e32 v57, v6, v7                                  // 00000000C7A0: 68720F06
	v_and_b32_e32 v4, 31, v0                                   // 00000000C7A4: 2608009F
	v_lshrrev_b32_e32 v4, 1, v4                                // 00000000C7A8: 20080881
	s_cmp_eq_u32 s88, 0                                        // 00000000C7AC: BF068058
	s_cselect_b32 s61, 2, 4                                    // 00000000C7B0: 853D8482
	v_mul_lo_u32 v4, v4, s61                                   // 00000000C7B4: D2850004 00007B04
	v_and_b32_e64 v5, v0, 1                                    // 00000000C7BC: D1130005 00010300
	v_add_u32_e32 v4, v4, v5                                   // 00000000C7C4: 68080B04
	v_lshlrev_b32_e32 v4, 2, v4                                // 00000000C7C8: 24080882
	v_add_u32_e32 v48, v48, v4                                 // 00000000C7CC: 68600930
	v_add_u32_e32 v49, v49, v4                                 // 00000000C7D0: 68620931
	v_add_u32_e32 v50, v50, v4                                 // 00000000C7D4: 68640932
	v_add_u32_e32 v51, v51, v4                                 // 00000000C7D8: 68660933
	v_add_u32_e32 v52, v52, v4                                 // 00000000C7DC: 68680934
	v_add_u32_e32 v53, v53, v4                                 // 00000000C7E0: 686A0935
	v_add_u32_e32 v54, v54, v4                                 // 00000000C7E4: 686C0936
	v_add_u32_e32 v55, v55, v4                                 // 00000000C7E8: 686E0937
	v_add_u32_e32 v56, v56, v4                                 // 00000000C7EC: 68700938
	v_add_u32_e32 v57, v57, v4                                 // 00000000C7F0: 68720939
	s_waitcnt lgkmcnt(0)                                       // 00000000C7F4: BF8CC07F
	s_barrier                                                  // 00000000C7F8: BF8A0000
	ds_read_b32 v64, v21                                       // 00000000C7FC: D86C0000 40000015
	ds_read_b32 v65, v21 offset:64                             // 00000000C804: D86C0040 41000015
	ds_read_b32 v66, v21 offset:2176                           // 00000000C80C: D86C0880 42000015
	ds_read_b32 v67, v21 offset:2240                           // 00000000C814: D86C08C0 43000015
	ds_read_b32 v68, v21 offset:4352                           // 00000000C81C: D86C1100 44000015
	ds_read_b32 v69, v21 offset:4416                           // 00000000C824: D86C1140 45000015
	ds_read_b32 v70, v21 offset:6528                           // 00000000C82C: D86C1980 46000015
	ds_read_b32 v71, v21 offset:6592                           // 00000000C834: D86C19C0 47000015
	ds_read_b32 v72, v21 offset:8704                           // 00000000C83C: D86C2200 48000015
	ds_read_b32 v73, v21 offset:8768                           // 00000000C844: D86C2240 49000015
	ds_read_b32 v74, v21 offset:10880                          // 00000000C84C: D86C2A80 4A000015
	ds_read_b32 v75, v21 offset:10944                          // 00000000C854: D86C2AC0 4B000015
	ds_read_b32 v76, v21 offset:13056                          // 00000000C85C: D86C3300 4C000015
	ds_read_b32 v77, v21 offset:13120                          // 00000000C864: D86C3340 4D000015
	ds_read_b32 v78, v21 offset:15232                          // 00000000C86C: D86C3B80 4E000015
	ds_read_b32 v79, v21 offset:15296                          // 00000000C874: D86C3BC0 4F000015
	ds_read_b32 v80, v21 offset:17408                          // 00000000C87C: D86C4400 50000015
	ds_read_b32 v81, v21 offset:17472                          // 00000000C884: D86C4440 51000015
	ds_read_b32 v82, v21 offset:19584                          // 00000000C88C: D86C4C80 52000015
	ds_read_b32 v83, v21 offset:19648                          // 00000000C894: D86C4CC0 53000015
	ds_read_b32 v84, v21 offset:21760                          // 00000000C89C: D86C5500 54000015
	ds_read_b32 v85, v21 offset:21824                          // 00000000C8A4: D86C5540 55000015
	ds_read_b32 v86, v21 offset:23936                          // 00000000C8AC: D86C5D80 56000015
	ds_read_b32 v87, v21 offset:24000                          // 00000000C8B4: D86C5DC0 57000015
	ds_read_b32 v88, v21 offset:26112                          // 00000000C8BC: D86C6600 58000015
	ds_read_b32 v89, v21 offset:26176                          // 00000000C8C4: D86C6640 59000015
	ds_read_b32 v90, v21 offset:28288                          // 00000000C8CC: D86C6E80 5A000015
	ds_read_b32 v91, v21 offset:28352                          // 00000000C8D4: D86C6EC0 5B000015
	ds_read_b32 v92, v21 offset:30464                          // 00000000C8DC: D86C7700 5C000015
	ds_read_b32 v93, v21 offset:30528                          // 00000000C8E4: D86C7740 5D000015
	ds_read_b32 v94, v21 offset:32640                          // 00000000C8EC: D86C7F80 5E000015
	ds_read_b32 v95, v21 offset:32704                          // 00000000C8F4: D86C7FC0 5F000015
	ds_read_b32 v96, v21 offset:34816                          // 00000000C8FC: D86C8800 60000015
	ds_read_b32 v97, v21 offset:34880                          // 00000000C904: D86C8840 61000015
	ds_read_b32 v98, v21 offset:36992                          // 00000000C90C: D86C9080 62000015
	ds_read_b32 v99, v21 offset:37056                          // 00000000C914: D86C90C0 63000015
	ds_read_b32 v100, v21 offset:39168                         // 00000000C91C: D86C9900 64000015
	ds_read_b32 v101, v21 offset:39232                         // 00000000C924: D86C9940 65000015
	ds_read_b32 v102, v21 offset:41344                         // 00000000C92C: D86CA180 66000015
	ds_read_b32 v103, v21 offset:41408                         // 00000000C934: D86CA1C0 67000015
	s_waitcnt lgkmcnt(0)                                       // 00000000C93C: BF8CC07F
	s_mov_b32 s36, -1                                          // 00000000C940: BEA400C1
	s_mov_b32 s37, -1                                          // 00000000C944: BEA500C1
	v_mov_b32_e32 v7, 0                                        // 00000000C948: 7E0E0280
	s_or_b32 s9, s9, 0x40000                                   // 00000000C94C: 8709FF09 00040000
	s_mov_b64 exec, s[36:37]                                   // 00000000C954: BEFE0124
	v_mov_b32_e32 v6, v48                                      // 00000000C958: 7E0C0330
	s_mov_b64 s[60:61], 0                                      // 00000000C95C: BEBC0180
	v_readlane_b32 s82, v3, 0                                  // 00000000C960: D2890052 00010103
	s_and_b32 s82, s82, 0xffffff                               // 00000000C968: 8652FF52 00FFFFFF
	s_cmp_lt_u32 s82, s66                                      // 00000000C970: BF0A4252
	s_cselect_b32 s20, s36, s60                                // 00000000C974: 85143C24
	v_readlane_b32 s82, v3, 1                                  // 00000000C978: D2890052 00010303
	s_and_b32 s82, s82, 0xffffff                               // 00000000C980: 8652FF52 00FFFFFF
	s_cmp_lt_u32 s82, s66                                      // 00000000C988: BF0A4252
	s_cselect_b32 s21, s36, s60                                // 00000000C98C: 85153C24
	s_mov_b64 exec, s[20:21]                                   // 00000000C990: BEFE0114
	buffer_store_dword v64, v6, s[8:11], 0 offen               // 00000000C994: E0701000 80024006
	buffer_store_dword v66, v6, s[8:11], 0 offen offset:128    // 00000000C99C: E0701080 80024206
	buffer_store_dword v68, v6, s[8:11], 0 offen offset:256    // 00000000C9A4: E0701100 80024406
	buffer_store_dword v70, v6, s[8:11], 0 offen offset:384    // 00000000C9AC: E0701180 80024606
	s_mov_b64 exec, s[36:37]                                   // 00000000C9B4: BEFE0124
	v_mov_b32_e32 v6, v49                                      // 00000000C9B8: 7E0C0331
	s_mov_b64 s[60:61], 0                                      // 00000000C9BC: BEBC0180
	v_readlane_b32 s82, v3, 2                                  // 00000000C9C0: D2890052 00010503
	s_and_b32 s82, s82, 0xffffff                               // 00000000C9C8: 8652FF52 00FFFFFF
	s_cmp_lt_u32 s82, s66                                      // 00000000C9D0: BF0A4252
	s_cselect_b32 s20, s36, s60                                // 00000000C9D4: 85143C24
	v_readlane_b32 s82, v3, 3                                  // 00000000C9D8: D2890052 00010703
	s_and_b32 s82, s82, 0xffffff                               // 00000000C9E0: 8652FF52 00FFFFFF
	s_cmp_lt_u32 s82, s66                                      // 00000000C9E8: BF0A4252
	s_cselect_b32 s21, s36, s60                                // 00000000C9EC: 85153C24
	s_mov_b64 exec, s[20:21]                                   // 00000000C9F0: BEFE0114
	buffer_store_dword v65, v6, s[8:11], 0 offen               // 00000000C9F4: E0701000 80024106
	buffer_store_dword v67, v6, s[8:11], 0 offen offset:128    // 00000000C9FC: E0701080 80024306
	buffer_store_dword v69, v6, s[8:11], 0 offen offset:256    // 00000000CA04: E0701100 80024506
	buffer_store_dword v71, v6, s[8:11], 0 offen offset:384    // 00000000CA0C: E0701180 80024706
	s_mov_b64 exec, s[36:37]                                   // 00000000CA14: BEFE0124
	v_mov_b32_e32 v6, v50                                      // 00000000CA18: 7E0C0332
	s_mov_b64 s[60:61], 0                                      // 00000000CA1C: BEBC0180
	v_readlane_b32 s82, v3, 4                                  // 00000000CA20: D2890052 00010903
	s_and_b32 s82, s82, 0xffffff                               // 00000000CA28: 8652FF52 00FFFFFF
	s_cmp_lt_u32 s82, s66                                      // 00000000CA30: BF0A4252
	s_cselect_b32 s20, s36, s60                                // 00000000CA34: 85143C24
	v_readlane_b32 s82, v3, 5                                  // 00000000CA38: D2890052 00010B03
	s_and_b32 s82, s82, 0xffffff                               // 00000000CA40: 8652FF52 00FFFFFF
	s_cmp_lt_u32 s82, s66                                      // 00000000CA48: BF0A4252
	s_cselect_b32 s21, s36, s60                                // 00000000CA4C: 85153C24
	s_mov_b64 exec, s[20:21]                                   // 00000000CA50: BEFE0114
	buffer_store_dword v72, v6, s[8:11], 0 offen               // 00000000CA54: E0701000 80024806
	buffer_store_dword v74, v6, s[8:11], 0 offen offset:128    // 00000000CA5C: E0701080 80024A06
	buffer_store_dword v76, v6, s[8:11], 0 offen offset:256    // 00000000CA64: E0701100 80024C06
	buffer_store_dword v78, v6, s[8:11], 0 offen offset:384    // 00000000CA6C: E0701180 80024E06
	s_mov_b64 exec, s[36:37]                                   // 00000000CA74: BEFE0124
	v_mov_b32_e32 v6, v51                                      // 00000000CA78: 7E0C0333
	s_mov_b64 s[60:61], 0                                      // 00000000CA7C: BEBC0180
	v_readlane_b32 s82, v3, 6                                  // 00000000CA80: D2890052 00010D03
	s_and_b32 s82, s82, 0xffffff                               // 00000000CA88: 8652FF52 00FFFFFF
	s_cmp_lt_u32 s82, s66                                      // 00000000CA90: BF0A4252
	s_cselect_b32 s20, s36, s60                                // 00000000CA94: 85143C24
	v_readlane_b32 s82, v3, 7                                  // 00000000CA98: D2890052 00010F03
	s_and_b32 s82, s82, 0xffffff                               // 00000000CAA0: 8652FF52 00FFFFFF
	s_cmp_lt_u32 s82, s66                                      // 00000000CAA8: BF0A4252
	s_cselect_b32 s21, s36, s60                                // 00000000CAAC: 85153C24
	s_mov_b64 exec, s[20:21]                                   // 00000000CAB0: BEFE0114
	buffer_store_dword v73, v6, s[8:11], 0 offen               // 00000000CAB4: E0701000 80024906
	buffer_store_dword v75, v6, s[8:11], 0 offen offset:128    // 00000000CABC: E0701080 80024B06
	buffer_store_dword v77, v6, s[8:11], 0 offen offset:256    // 00000000CAC4: E0701100 80024D06
	buffer_store_dword v79, v6, s[8:11], 0 offen offset:384    // 00000000CACC: E0701180 80024F06
	s_mov_b64 exec, s[36:37]                                   // 00000000CAD4: BEFE0124
	v_mov_b32_e32 v6, v52                                      // 00000000CAD8: 7E0C0334
	s_mov_b64 s[60:61], 0                                      // 00000000CADC: BEBC0180
	v_readlane_b32 s82, v3, 8                                  // 00000000CAE0: D2890052 00011103
	s_and_b32 s82, s82, 0xffffff                               // 00000000CAE8: 8652FF52 00FFFFFF
	s_cmp_lt_u32 s82, s66                                      // 00000000CAF0: BF0A4252
	s_cselect_b32 s20, s36, s60                                // 00000000CAF4: 85143C24
	v_readlane_b32 s82, v3, 9                                  // 00000000CAF8: D2890052 00011303
	s_and_b32 s82, s82, 0xffffff                               // 00000000CB00: 8652FF52 00FFFFFF
	s_cmp_lt_u32 s82, s66                                      // 00000000CB08: BF0A4252
	s_cselect_b32 s21, s36, s60                                // 00000000CB0C: 85153C24
	s_mov_b64 exec, s[20:21]                                   // 00000000CB10: BEFE0114
	buffer_store_dword v80, v6, s[8:11], 0 offen               // 00000000CB14: E0701000 80025006
	buffer_store_dword v82, v6, s[8:11], 0 offen offset:128    // 00000000CB1C: E0701080 80025206
	buffer_store_dword v84, v6, s[8:11], 0 offen offset:256    // 00000000CB24: E0701100 80025406
	buffer_store_dword v86, v6, s[8:11], 0 offen offset:384    // 00000000CB2C: E0701180 80025606
	s_mov_b64 exec, s[36:37]                                   // 00000000CB34: BEFE0124
	v_mov_b32_e32 v6, v53                                      // 00000000CB38: 7E0C0335
	s_mov_b64 s[60:61], 0                                      // 00000000CB3C: BEBC0180
	v_readlane_b32 s82, v3, 10                                 // 00000000CB40: D2890052 00011503
	s_and_b32 s82, s82, 0xffffff                               // 00000000CB48: 8652FF52 00FFFFFF
	s_cmp_lt_u32 s82, s66                                      // 00000000CB50: BF0A4252
	s_cselect_b32 s20, s36, s60                                // 00000000CB54: 85143C24
	v_readlane_b32 s82, v3, 11                                 // 00000000CB58: D2890052 00011703
	s_and_b32 s82, s82, 0xffffff                               // 00000000CB60: 8652FF52 00FFFFFF
	s_cmp_lt_u32 s82, s66                                      // 00000000CB68: BF0A4252
	s_cselect_b32 s21, s36, s60                                // 00000000CB6C: 85153C24
	s_mov_b64 exec, s[20:21]                                   // 00000000CB70: BEFE0114
	buffer_store_dword v81, v6, s[8:11], 0 offen               // 00000000CB74: E0701000 80025106
	buffer_store_dword v83, v6, s[8:11], 0 offen offset:128    // 00000000CB7C: E0701080 80025306
	buffer_store_dword v85, v6, s[8:11], 0 offen offset:256    // 00000000CB84: E0701100 80025506
	buffer_store_dword v87, v6, s[8:11], 0 offen offset:384    // 00000000CB8C: E0701180 80025706
	s_mov_b64 exec, s[36:37]                                   // 00000000CB94: BEFE0124
	v_mov_b32_e32 v6, v54                                      // 00000000CB98: 7E0C0336
	s_mov_b64 s[60:61], 0                                      // 00000000CB9C: BEBC0180
	v_readlane_b32 s82, v3, 12                                 // 00000000CBA0: D2890052 00011903
	s_and_b32 s82, s82, 0xffffff                               // 00000000CBA8: 8652FF52 00FFFFFF
	s_cmp_lt_u32 s82, s66                                      // 00000000CBB0: BF0A4252
	s_cselect_b32 s20, s36, s60                                // 00000000CBB4: 85143C24
	v_readlane_b32 s82, v3, 13                                 // 00000000CBB8: D2890052 00011B03
	s_and_b32 s82, s82, 0xffffff                               // 00000000CBC0: 8652FF52 00FFFFFF
	s_cmp_lt_u32 s82, s66                                      // 00000000CBC8: BF0A4252
	s_cselect_b32 s21, s36, s60                                // 00000000CBCC: 85153C24
	s_mov_b64 exec, s[20:21]                                   // 00000000CBD0: BEFE0114
	buffer_store_dword v88, v6, s[8:11], 0 offen               // 00000000CBD4: E0701000 80025806
	buffer_store_dword v90, v6, s[8:11], 0 offen offset:128    // 00000000CBDC: E0701080 80025A06
	buffer_store_dword v92, v6, s[8:11], 0 offen offset:256    // 00000000CBE4: E0701100 80025C06
	buffer_store_dword v94, v6, s[8:11], 0 offen offset:384    // 00000000CBEC: E0701180 80025E06
	s_mov_b64 exec, s[36:37]                                   // 00000000CBF4: BEFE0124
	v_mov_b32_e32 v6, v55                                      // 00000000CBF8: 7E0C0337
	s_mov_b64 s[60:61], 0                                      // 00000000CBFC: BEBC0180
	v_readlane_b32 s82, v3, 14                                 // 00000000CC00: D2890052 00011D03
	s_and_b32 s82, s82, 0xffffff                               // 00000000CC08: 8652FF52 00FFFFFF
	s_cmp_lt_u32 s82, s66                                      // 00000000CC10: BF0A4252
	s_cselect_b32 s20, s36, s60                                // 00000000CC14: 85143C24
	v_readlane_b32 s82, v3, 15                                 // 00000000CC18: D2890052 00011F03
	s_and_b32 s82, s82, 0xffffff                               // 00000000CC20: 8652FF52 00FFFFFF
	s_cmp_lt_u32 s82, s66                                      // 00000000CC28: BF0A4252
	s_cselect_b32 s21, s36, s60                                // 00000000CC2C: 85153C24
	s_mov_b64 exec, s[20:21]                                   // 00000000CC30: BEFE0114
	buffer_store_dword v89, v6, s[8:11], 0 offen               // 00000000CC34: E0701000 80025906
	buffer_store_dword v91, v6, s[8:11], 0 offen offset:128    // 00000000CC3C: E0701080 80025B06
	buffer_store_dword v93, v6, s[8:11], 0 offen offset:256    // 00000000CC44: E0701100 80025D06
	buffer_store_dword v95, v6, s[8:11], 0 offen offset:384    // 00000000CC4C: E0701180 80025F06
	s_mov_b64 exec, s[36:37]                                   // 00000000CC54: BEFE0124
	v_mov_b32_e32 v6, v56                                      // 00000000CC58: 7E0C0338
	s_mov_b64 s[60:61], 0                                      // 00000000CC5C: BEBC0180
	v_readlane_b32 s82, v3, 16                                 // 00000000CC60: D2890052 00012103
	s_and_b32 s82, s82, 0xffffff                               // 00000000CC68: 8652FF52 00FFFFFF
	s_cmp_lt_u32 s82, s66                                      // 00000000CC70: BF0A4252
	s_cselect_b32 s20, s36, s60                                // 00000000CC74: 85143C24
	v_readlane_b32 s82, v3, 17                                 // 00000000CC78: D2890052 00012303
	s_and_b32 s82, s82, 0xffffff                               // 00000000CC80: 8652FF52 00FFFFFF
	s_cmp_lt_u32 s82, s66                                      // 00000000CC88: BF0A4252
	s_cselect_b32 s21, s36, s60                                // 00000000CC8C: 85153C24
	s_mov_b64 exec, s[20:21]                                   // 00000000CC90: BEFE0114
	buffer_store_dword v96, v6, s[8:11], 0 offen               // 00000000CC94: E0701000 80026006
	buffer_store_dword v98, v6, s[8:11], 0 offen offset:128    // 00000000CC9C: E0701080 80026206
	buffer_store_dword v100, v6, s[8:11], 0 offen offset:256   // 00000000CCA4: E0701100 80026406
	buffer_store_dword v102, v6, s[8:11], 0 offen offset:384   // 00000000CCAC: E0701180 80026606
	s_mov_b64 exec, s[36:37]                                   // 00000000CCB4: BEFE0124
	v_mov_b32_e32 v6, v57                                      // 00000000CCB8: 7E0C0339
	s_mov_b64 s[60:61], 0                                      // 00000000CCBC: BEBC0180
	v_readlane_b32 s82, v3, 18                                 // 00000000CCC0: D2890052 00012503
	s_and_b32 s82, s82, 0xffffff                               // 00000000CCC8: 8652FF52 00FFFFFF
	s_cmp_lt_u32 s82, s66                                      // 00000000CCD0: BF0A4252
	s_cselect_b32 s20, s36, s60                                // 00000000CCD4: 85143C24
	v_readlane_b32 s82, v3, 19                                 // 00000000CCD8: D2890052 00012703
	s_and_b32 s82, s82, 0xffffff                               // 00000000CCE0: 8652FF52 00FFFFFF
	s_cmp_lt_u32 s82, s66                                      // 00000000CCE8: BF0A4252
	s_cselect_b32 s21, s36, s60                                // 00000000CCEC: 85153C24
	s_mov_b64 exec, s[20:21]                                   // 00000000CCF0: BEFE0114
	buffer_store_dword v97, v6, s[8:11], 0 offen               // 00000000CCF4: E0701000 80026106
	buffer_store_dword v99, v6, s[8:11], 0 offen offset:128    // 00000000CCFC: E0701080 80026306
	buffer_store_dword v101, v6, s[8:11], 0 offen offset:256   // 00000000CD04: E0701100 80026506
	buffer_store_dword v103, v6, s[8:11], 0 offen offset:384   // 00000000CD0C: E0701180 80026706
	s_mov_b64 exec, s[36:37]                                   // 00000000CD14: BEFE0124
	s_branch label_2F70                                        // 00000000CD18: BF8206A6

000000000000cd1c <label_28CA>:
	ds_write_b64 v20, v[64:65]                                 // 00000000CD1C: D89A0000 00004014
	ds_write_b64 v20, v[68:69] offset:8704                     // 00000000CD24: D89A2200 00004414
	ds_write_b64 v20, v[72:73] offset:17408                    // 00000000CD2C: D89A4400 00004814
	ds_write_b64 v20, v[76:77] offset:26112                    // 00000000CD34: D89A6600 00004C14
	ds_write_b64 v20, v[80:81] offset:34816                    // 00000000CD3C: D89A8800 00005014
	ds_write_b64 v20, v[84:85] offset:2176                     // 00000000CD44: D89A0880 00005414
	ds_write_b64 v20, v[88:89] offset:10880                    // 00000000CD4C: D89A2A80 00005814
	ds_write_b64 v20, v[92:93] offset:19584                    // 00000000CD54: D89A4C80 00005C14
	ds_write_b64 v20, v[96:97] offset:28288                    // 00000000CD5C: D89A6E80 00006014
	ds_write_b64 v20, v[100:101] offset:36992                  // 00000000CD64: D89A9080 00006414
	ds_write_b64 v20, v[104:105] offset:4352                   // 00000000CD6C: D89A1100 00006814
	ds_write_b64 v20, v[108:109] offset:13056                  // 00000000CD74: D89A3300 00006C14
	ds_write_b64 v20, v[112:113] offset:21760                  // 00000000CD7C: D89A5500 00007014
	ds_write_b64 v20, v[116:117] offset:30464                  // 00000000CD84: D89A7700 00007414
	ds_write_b64 v20, v[120:121] offset:39168                  // 00000000CD8C: D89A9900 00007814
	ds_write_b64 v20, v[124:125] offset:6528                   // 00000000CD94: D89A1980 00007C14
	ds_write_b64 v20, v[128:129] offset:15232                  // 00000000CD9C: D89A3B80 00008014
	ds_write_b64 v20, v[132:133] offset:23936                  // 00000000CDA4: D89A5D80 00008414
	ds_write_b64 v20, v[136:137] offset:32640                  // 00000000CDAC: D89A7F80 00008814
	ds_write_b64 v20, v[140:141] offset:41344                  // 00000000CDB4: D89AA180 00008C14
	v_lshrrev_b32_e32 v4, 5, v0                                // 00000000CDBC: 20080085
	v_xor_b32_e32 v5, 1, v4                                    // 00000000CDC0: 2A0A0881
	s_mul_i32 s60, s65, 2                                      // 00000000CDC4: 923C8241
	s_cmp_eq_u32 s88, 0                                        // 00000000CDC8: BF068058
	s_cselect_b32 s61, 1, 4                                    // 00000000CDCC: 853D8481
	s_mul_i32 s60, s61, s60                                    // 00000000CDD0: 923C3C3D
	v_readlane_b32 s82, v3, 0                                  // 00000000CDD4: D2890052 00010103
	s_lshr_b32 s61, s82, 24                                    // 00000000CDDC: 8F3D9852
	s_and_b32 s82, s82, 0xffffff                               // 00000000CDE0: 8652FF52 00FFFFFF
	s_mul_i32 s82, s82, s71                                    // 00000000CDE8: 92524752
	s_mul_i32 s61, s60, s61                                    // 00000000CDEC: 923D3D3C
	s_add_u32 s82, s82, s61                                    // 00000000CDF0: 80523D52
	v_mul_lo_u32 v6, v5, s82                                   // 00000000CDF4: D2850006 0000A505
	v_readlane_b32 s82, v3, 1                                  // 00000000CDFC: D2890052 00010303
	s_lshr_b32 s61, s82, 24                                    // 00000000CE04: 8F3D9852
	s_and_b32 s82, s82, 0xffffff                               // 00000000CE08: 8652FF52 00FFFFFF
	s_mul_i32 s82, s82, s71                                    // 00000000CE10: 92524752
	s_mul_i32 s61, s60, s61                                    // 00000000CE14: 923D3D3C
	s_add_u32 s82, s82, s61                                    // 00000000CE18: 80523D52
	v_mul_lo_u32 v7, v4, s82                                   // 00000000CE1C: D2850007 0000A504
	v_add_u32_e32 v48, v6, v7                                  // 00000000CE24: 68600F06
	v_readlane_b32 s82, v3, 2                                  // 00000000CE28: D2890052 00010503
	s_lshr_b32 s61, s82, 24                                    // 00000000CE30: 8F3D9852
	s_and_b32 s82, s82, 0xffffff                               // 00000000CE34: 8652FF52 00FFFFFF
	s_mul_i32 s82, s82, s71                                    // 00000000CE3C: 92524752
	s_mul_i32 s61, s60, s61                                    // 00000000CE40: 923D3D3C
	s_add_u32 s82, s82, s61                                    // 00000000CE44: 80523D52
	v_mul_lo_u32 v6, v5, s82                                   // 00000000CE48: D2850006 0000A505
	v_readlane_b32 s82, v3, 3                                  // 00000000CE50: D2890052 00010703
	s_lshr_b32 s61, s82, 24                                    // 00000000CE58: 8F3D9852
	s_and_b32 s82, s82, 0xffffff                               // 00000000CE5C: 8652FF52 00FFFFFF
	s_mul_i32 s82, s82, s71                                    // 00000000CE64: 92524752
	s_mul_i32 s61, s60, s61                                    // 00000000CE68: 923D3D3C
	s_add_u32 s82, s82, s61                                    // 00000000CE6C: 80523D52
	v_mul_lo_u32 v7, v4, s82                                   // 00000000CE70: D2850007 0000A504
	v_add_u32_e32 v49, v6, v7                                  // 00000000CE78: 68620F06
	v_readlane_b32 s82, v3, 4                                  // 00000000CE7C: D2890052 00010903
	s_lshr_b32 s61, s82, 24                                    // 00000000CE84: 8F3D9852
	s_and_b32 s82, s82, 0xffffff                               // 00000000CE88: 8652FF52 00FFFFFF
	s_mul_i32 s82, s82, s71                                    // 00000000CE90: 92524752
	s_mul_i32 s61, s60, s61                                    // 00000000CE94: 923D3D3C
	s_add_u32 s82, s82, s61                                    // 00000000CE98: 80523D52
	v_mul_lo_u32 v6, v5, s82                                   // 00000000CE9C: D2850006 0000A505
	v_readlane_b32 s82, v3, 5                                  // 00000000CEA4: D2890052 00010B03
	s_lshr_b32 s61, s82, 24                                    // 00000000CEAC: 8F3D9852
	s_and_b32 s82, s82, 0xffffff                               // 00000000CEB0: 8652FF52 00FFFFFF
	s_mul_i32 s82, s82, s71                                    // 00000000CEB8: 92524752
	s_mul_i32 s61, s60, s61                                    // 00000000CEBC: 923D3D3C
	s_add_u32 s82, s82, s61                                    // 00000000CEC0: 80523D52
	v_mul_lo_u32 v7, v4, s82                                   // 00000000CEC4: D2850007 0000A504
	v_add_u32_e32 v50, v6, v7                                  // 00000000CECC: 68640F06
	v_readlane_b32 s82, v3, 6                                  // 00000000CED0: D2890052 00010D03
	s_lshr_b32 s61, s82, 24                                    // 00000000CED8: 8F3D9852
	s_and_b32 s82, s82, 0xffffff                               // 00000000CEDC: 8652FF52 00FFFFFF
	s_mul_i32 s82, s82, s71                                    // 00000000CEE4: 92524752
	s_mul_i32 s61, s60, s61                                    // 00000000CEE8: 923D3D3C
	s_add_u32 s82, s82, s61                                    // 00000000CEEC: 80523D52
	v_mul_lo_u32 v6, v5, s82                                   // 00000000CEF0: D2850006 0000A505
	v_readlane_b32 s82, v3, 7                                  // 00000000CEF8: D2890052 00010F03
	s_lshr_b32 s61, s82, 24                                    // 00000000CF00: 8F3D9852
	s_and_b32 s82, s82, 0xffffff                               // 00000000CF04: 8652FF52 00FFFFFF
	s_mul_i32 s82, s82, s71                                    // 00000000CF0C: 92524752
	s_mul_i32 s61, s60, s61                                    // 00000000CF10: 923D3D3C
	s_add_u32 s82, s82, s61                                    // 00000000CF14: 80523D52
	v_mul_lo_u32 v7, v4, s82                                   // 00000000CF18: D2850007 0000A504
	v_add_u32_e32 v51, v6, v7                                  // 00000000CF20: 68660F06
	v_readlane_b32 s82, v3, 8                                  // 00000000CF24: D2890052 00011103
	s_lshr_b32 s61, s82, 24                                    // 00000000CF2C: 8F3D9852
	s_and_b32 s82, s82, 0xffffff                               // 00000000CF30: 8652FF52 00FFFFFF
	s_mul_i32 s82, s82, s71                                    // 00000000CF38: 92524752
	s_mul_i32 s61, s60, s61                                    // 00000000CF3C: 923D3D3C
	s_add_u32 s82, s82, s61                                    // 00000000CF40: 80523D52
	v_mul_lo_u32 v6, v5, s82                                   // 00000000CF44: D2850006 0000A505
	v_readlane_b32 s82, v3, 9                                  // 00000000CF4C: D2890052 00011303
	s_lshr_b32 s61, s82, 24                                    // 00000000CF54: 8F3D9852
	s_and_b32 s82, s82, 0xffffff                               // 00000000CF58: 8652FF52 00FFFFFF
	s_mul_i32 s82, s82, s71                                    // 00000000CF60: 92524752
	s_mul_i32 s61, s60, s61                                    // 00000000CF64: 923D3D3C
	s_add_u32 s82, s82, s61                                    // 00000000CF68: 80523D52
	v_mul_lo_u32 v7, v4, s82                                   // 00000000CF6C: D2850007 0000A504
	v_add_u32_e32 v52, v6, v7                                  // 00000000CF74: 68680F06
	v_readlane_b32 s82, v3, 10                                 // 00000000CF78: D2890052 00011503
	s_lshr_b32 s61, s82, 24                                    // 00000000CF80: 8F3D9852
	s_and_b32 s82, s82, 0xffffff                               // 00000000CF84: 8652FF52 00FFFFFF
	s_mul_i32 s82, s82, s71                                    // 00000000CF8C: 92524752
	s_mul_i32 s61, s60, s61                                    // 00000000CF90: 923D3D3C
	s_add_u32 s82, s82, s61                                    // 00000000CF94: 80523D52
	v_mul_lo_u32 v6, v5, s82                                   // 00000000CF98: D2850006 0000A505
	v_readlane_b32 s82, v3, 11                                 // 00000000CFA0: D2890052 00011703
	s_lshr_b32 s61, s82, 24                                    // 00000000CFA8: 8F3D9852
	s_and_b32 s82, s82, 0xffffff                               // 00000000CFAC: 8652FF52 00FFFFFF
	s_mul_i32 s82, s82, s71                                    // 00000000CFB4: 92524752
	s_mul_i32 s61, s60, s61                                    // 00000000CFB8: 923D3D3C
	s_add_u32 s82, s82, s61                                    // 00000000CFBC: 80523D52
	v_mul_lo_u32 v7, v4, s82                                   // 00000000CFC0: D2850007 0000A504
	v_add_u32_e32 v53, v6, v7                                  // 00000000CFC8: 686A0F06
	v_readlane_b32 s82, v3, 12                                 // 00000000CFCC: D2890052 00011903
	s_lshr_b32 s61, s82, 24                                    // 00000000CFD4: 8F3D9852
	s_and_b32 s82, s82, 0xffffff                               // 00000000CFD8: 8652FF52 00FFFFFF
	s_mul_i32 s82, s82, s71                                    // 00000000CFE0: 92524752
	s_mul_i32 s61, s60, s61                                    // 00000000CFE4: 923D3D3C
	s_add_u32 s82, s82, s61                                    // 00000000CFE8: 80523D52
	v_mul_lo_u32 v6, v5, s82                                   // 00000000CFEC: D2850006 0000A505
	v_readlane_b32 s82, v3, 13                                 // 00000000CFF4: D2890052 00011B03
	s_lshr_b32 s61, s82, 24                                    // 00000000CFFC: 8F3D9852
	s_and_b32 s82, s82, 0xffffff                               // 00000000D000: 8652FF52 00FFFFFF
	s_mul_i32 s82, s82, s71                                    // 00000000D008: 92524752
	s_mul_i32 s61, s60, s61                                    // 00000000D00C: 923D3D3C
	s_add_u32 s82, s82, s61                                    // 00000000D010: 80523D52
	v_mul_lo_u32 v7, v4, s82                                   // 00000000D014: D2850007 0000A504
	v_add_u32_e32 v54, v6, v7                                  // 00000000D01C: 686C0F06
	v_readlane_b32 s82, v3, 14                                 // 00000000D020: D2890052 00011D03
	s_lshr_b32 s61, s82, 24                                    // 00000000D028: 8F3D9852
	s_and_b32 s82, s82, 0xffffff                               // 00000000D02C: 8652FF52 00FFFFFF
	s_mul_i32 s82, s82, s71                                    // 00000000D034: 92524752
	s_mul_i32 s61, s60, s61                                    // 00000000D038: 923D3D3C
	s_add_u32 s82, s82, s61                                    // 00000000D03C: 80523D52
	v_mul_lo_u32 v6, v5, s82                                   // 00000000D040: D2850006 0000A505
	v_readlane_b32 s82, v3, 15                                 // 00000000D048: D2890052 00011F03
	s_lshr_b32 s61, s82, 24                                    // 00000000D050: 8F3D9852
	s_and_b32 s82, s82, 0xffffff                               // 00000000D054: 8652FF52 00FFFFFF
	s_mul_i32 s82, s82, s71                                    // 00000000D05C: 92524752
	s_mul_i32 s61, s60, s61                                    // 00000000D060: 923D3D3C
	s_add_u32 s82, s82, s61                                    // 00000000D064: 80523D52
	v_mul_lo_u32 v7, v4, s82                                   // 00000000D068: D2850007 0000A504
	v_add_u32_e32 v55, v6, v7                                  // 00000000D070: 686E0F06
	v_readlane_b32 s82, v3, 16                                 // 00000000D074: D2890052 00012103
	s_lshr_b32 s61, s82, 24                                    // 00000000D07C: 8F3D9852
	s_and_b32 s82, s82, 0xffffff                               // 00000000D080: 8652FF52 00FFFFFF
	s_mul_i32 s82, s82, s71                                    // 00000000D088: 92524752
	s_mul_i32 s61, s60, s61                                    // 00000000D08C: 923D3D3C
	s_add_u32 s82, s82, s61                                    // 00000000D090: 80523D52
	v_mul_lo_u32 v6, v5, s82                                   // 00000000D094: D2850006 0000A505
	v_readlane_b32 s82, v3, 17                                 // 00000000D09C: D2890052 00012303
	s_lshr_b32 s61, s82, 24                                    // 00000000D0A4: 8F3D9852
	s_and_b32 s82, s82, 0xffffff                               // 00000000D0A8: 8652FF52 00FFFFFF
	s_mul_i32 s82, s82, s71                                    // 00000000D0B0: 92524752
	s_mul_i32 s61, s60, s61                                    // 00000000D0B4: 923D3D3C
	s_add_u32 s82, s82, s61                                    // 00000000D0B8: 80523D52
	v_mul_lo_u32 v7, v4, s82                                   // 00000000D0BC: D2850007 0000A504
	v_add_u32_e32 v56, v6, v7                                  // 00000000D0C4: 68700F06
	v_readlane_b32 s82, v3, 18                                 // 00000000D0C8: D2890052 00012503
	s_lshr_b32 s61, s82, 24                                    // 00000000D0D0: 8F3D9852
	s_and_b32 s82, s82, 0xffffff                               // 00000000D0D4: 8652FF52 00FFFFFF
	s_mul_i32 s82, s82, s71                                    // 00000000D0DC: 92524752
	s_mul_i32 s61, s60, s61                                    // 00000000D0E0: 923D3D3C
	s_add_u32 s82, s82, s61                                    // 00000000D0E4: 80523D52
	v_mul_lo_u32 v6, v5, s82                                   // 00000000D0E8: D2850006 0000A505
	v_readlane_b32 s82, v3, 19                                 // 00000000D0F0: D2890052 00012703
	s_lshr_b32 s61, s82, 24                                    // 00000000D0F8: 8F3D9852
	s_and_b32 s82, s82, 0xffffff                               // 00000000D0FC: 8652FF52 00FFFFFF
	s_mul_i32 s82, s82, s71                                    // 00000000D104: 92524752
	s_mul_i32 s61, s60, s61                                    // 00000000D108: 923D3D3C
	s_add_u32 s82, s82, s61                                    // 00000000D10C: 80523D52
	v_mul_lo_u32 v7, v4, s82                                   // 00000000D110: D2850007 0000A504
	v_add_u32_e32 v57, v6, v7                                  // 00000000D118: 68720F06
	v_and_b32_e32 v4, 31, v0                                   // 00000000D11C: 2608009F
	v_lshrrev_b32_e32 v4, 1, v4                                // 00000000D120: 20080881
	s_cmp_eq_u32 s88, 0                                        // 00000000D124: BF068058
	s_cselect_b32 s61, 2, 4                                    // 00000000D128: 853D8482
	v_mul_lo_u32 v4, v4, s61                                   // 00000000D12C: D2850004 00007B04
	v_and_b32_e64 v5, v0, 1                                    // 00000000D134: D1130005 00010300
	v_add_u32_e32 v4, v4, v5                                   // 00000000D13C: 68080B04
	v_lshlrev_b32_e32 v4, 2, v4                                // 00000000D140: 24080882
	v_add_u32_e32 v48, v48, v4                                 // 00000000D144: 68600930
	v_add_u32_e32 v49, v49, v4                                 // 00000000D148: 68620931
	v_add_u32_e32 v50, v50, v4                                 // 00000000D14C: 68640932
	v_add_u32_e32 v51, v51, v4                                 // 00000000D150: 68660933
	v_add_u32_e32 v52, v52, v4                                 // 00000000D154: 68680934
	v_add_u32_e32 v53, v53, v4                                 // 00000000D158: 686A0935
	v_add_u32_e32 v54, v54, v4                                 // 00000000D15C: 686C0936
	v_add_u32_e32 v55, v55, v4                                 // 00000000D160: 686E0937
	v_add_u32_e32 v56, v56, v4                                 // 00000000D164: 68700938
	v_add_u32_e32 v57, v57, v4                                 // 00000000D168: 68720939
	s_waitcnt lgkmcnt(0)                                       // 00000000D16C: BF8CC07F
	s_barrier                                                  // 00000000D170: BF8A0000
	ds_read_b32 v64, v21                                       // 00000000D174: D86C0000 40000015
	ds_read_b32 v65, v21 offset:64                             // 00000000D17C: D86C0040 41000015
	ds_read_b32 v68, v21 offset:2176                           // 00000000D184: D86C0880 44000015
	ds_read_b32 v69, v21 offset:2240                           // 00000000D18C: D86C08C0 45000015
	ds_read_b32 v72, v21 offset:4352                           // 00000000D194: D86C1100 48000015
	ds_read_b32 v73, v21 offset:4416                           // 00000000D19C: D86C1140 49000015
	ds_read_b32 v76, v21 offset:6528                           // 00000000D1A4: D86C1980 4C000015
	ds_read_b32 v77, v21 offset:6592                           // 00000000D1AC: D86C19C0 4D000015
	ds_read_b32 v80, v21 offset:8704                           // 00000000D1B4: D86C2200 50000015
	ds_read_b32 v81, v21 offset:8768                           // 00000000D1BC: D86C2240 51000015
	ds_read_b32 v84, v21 offset:10880                          // 00000000D1C4: D86C2A80 54000015
	ds_read_b32 v85, v21 offset:10944                          // 00000000D1CC: D86C2AC0 55000015
	ds_read_b32 v88, v21 offset:13056                          // 00000000D1D4: D86C3300 58000015
	ds_read_b32 v89, v21 offset:13120                          // 00000000D1DC: D86C3340 59000015
	ds_read_b32 v92, v21 offset:15232                          // 00000000D1E4: D86C3B80 5C000015
	ds_read_b32 v93, v21 offset:15296                          // 00000000D1EC: D86C3BC0 5D000015
	ds_read_b32 v96, v21 offset:17408                          // 00000000D1F4: D86C4400 60000015
	ds_read_b32 v97, v21 offset:17472                          // 00000000D1FC: D86C4440 61000015
	ds_read_b32 v100, v21 offset:19584                         // 00000000D204: D86C4C80 64000015
	ds_read_b32 v101, v21 offset:19648                         // 00000000D20C: D86C4CC0 65000015
	ds_read_b32 v104, v21 offset:21760                         // 00000000D214: D86C5500 68000015
	ds_read_b32 v105, v21 offset:21824                         // 00000000D21C: D86C5540 69000015
	ds_read_b32 v108, v21 offset:23936                         // 00000000D224: D86C5D80 6C000015
	ds_read_b32 v109, v21 offset:24000                         // 00000000D22C: D86C5DC0 6D000015
	ds_read_b32 v112, v21 offset:26112                         // 00000000D234: D86C6600 70000015
	ds_read_b32 v113, v21 offset:26176                         // 00000000D23C: D86C6640 71000015
	ds_read_b32 v116, v21 offset:28288                         // 00000000D244: D86C6E80 74000015
	ds_read_b32 v117, v21 offset:28352                         // 00000000D24C: D86C6EC0 75000015
	ds_read_b32 v120, v21 offset:30464                         // 00000000D254: D86C7700 78000015
	ds_read_b32 v121, v21 offset:30528                         // 00000000D25C: D86C7740 79000015
	ds_read_b32 v124, v21 offset:32640                         // 00000000D264: D86C7F80 7C000015
	ds_read_b32 v125, v21 offset:32704                         // 00000000D26C: D86C7FC0 7D000015
	ds_read_b32 v128, v21 offset:34816                         // 00000000D274: D86C8800 80000015
	ds_read_b32 v129, v21 offset:34880                         // 00000000D27C: D86C8840 81000015
	ds_read_b32 v132, v21 offset:36992                         // 00000000D284: D86C9080 84000015
	ds_read_b32 v133, v21 offset:37056                         // 00000000D28C: D86C90C0 85000015
	ds_read_b32 v136, v21 offset:39168                         // 00000000D294: D86C9900 88000015
	ds_read_b32 v137, v21 offset:39232                         // 00000000D29C: D86C9940 89000015
	ds_read_b32 v140, v21 offset:41344                         // 00000000D2A4: D86CA180 8C000015
	ds_read_b32 v141, v21 offset:41408                         // 00000000D2AC: D86CA1C0 8D000015
	s_waitcnt lgkmcnt(0)                                       // 00000000D2B4: BF8CC07F
	s_mov_b32 s36, -1                                          // 00000000D2B8: BEA400C1
	s_mov_b32 s37, -1                                          // 00000000D2BC: BEA500C1
	v_mov_b32_e32 v7, 0                                        // 00000000D2C0: 7E0E0280
	s_mov_b64 exec, s[36:37]                                   // 00000000D2C4: BEFE0124
	v_mov_b32_e32 v6, v48                                      // 00000000D2C8: 7E0C0330
	s_mov_b64 s[60:61], 0                                      // 00000000D2CC: BEBC0180
	v_readlane_b32 s82, v3, 0                                  // 00000000D2D0: D2890052 00010103
	s_and_b32 s82, s82, 0xffffff                               // 00000000D2D8: 8652FF52 00FFFFFF
	s_cmp_lt_u32 s82, s66                                      // 00000000D2E0: BF0A4252
	s_cselect_b32 s20, s36, s60                                // 00000000D2E4: 85143C24
	v_readlane_b32 s82, v3, 1                                  // 00000000D2E8: D2890052 00010303
	s_and_b32 s82, s82, 0xffffff                               // 00000000D2F0: 8652FF52 00FFFFFF
	s_cmp_lt_u32 s82, s66                                      // 00000000D2F8: BF0A4252
	s_cselect_b32 s21, s36, s60                                // 00000000D2FC: 85153C24
	s_mov_b64 exec, s[20:21]                                   // 00000000D300: BEFE0114
	global_atomic_add_f32 v6, v64, s[8:9]                      // 00000000D304: DD348000 00084006
	global_atomic_add_f32 v6, v68, s[8:9] offset:256           // 00000000D30C: DD348100 00084406
	global_atomic_add_f32 v6, v72, s[8:9] offset:512           // 00000000D314: DD348200 00084806
	global_atomic_add_f32 v6, v76, s[8:9] offset:768           // 00000000D31C: DD348300 00084C06
	s_mov_b64 exec, s[36:37]                                   // 00000000D324: BEFE0124
	v_mov_b32_e32 v6, v49                                      // 00000000D328: 7E0C0331
	s_mov_b64 s[60:61], 0                                      // 00000000D32C: BEBC0180
	v_readlane_b32 s82, v3, 2                                  // 00000000D330: D2890052 00010503
	s_and_b32 s82, s82, 0xffffff                               // 00000000D338: 8652FF52 00FFFFFF
	s_cmp_lt_u32 s82, s66                                      // 00000000D340: BF0A4252
	s_cselect_b32 s20, s36, s60                                // 00000000D344: 85143C24
	v_readlane_b32 s82, v3, 3                                  // 00000000D348: D2890052 00010703
	s_and_b32 s82, s82, 0xffffff                               // 00000000D350: 8652FF52 00FFFFFF
	s_cmp_lt_u32 s82, s66                                      // 00000000D358: BF0A4252
	s_cselect_b32 s21, s36, s60                                // 00000000D35C: 85153C24
	s_mov_b64 exec, s[20:21]                                   // 00000000D360: BEFE0114
	global_atomic_add_f32 v6, v65, s[8:9]                      // 00000000D364: DD348000 00084106
	global_atomic_add_f32 v6, v69, s[8:9] offset:256           // 00000000D36C: DD348100 00084506
	global_atomic_add_f32 v6, v73, s[8:9] offset:512           // 00000000D374: DD348200 00084906
	global_atomic_add_f32 v6, v77, s[8:9] offset:768           // 00000000D37C: DD348300 00084D06
	s_mov_b64 exec, s[36:37]                                   // 00000000D384: BEFE0124
	v_mov_b32_e32 v6, v50                                      // 00000000D388: 7E0C0332
	s_mov_b64 s[60:61], 0                                      // 00000000D38C: BEBC0180
	v_readlane_b32 s82, v3, 4                                  // 00000000D390: D2890052 00010903
	s_and_b32 s82, s82, 0xffffff                               // 00000000D398: 8652FF52 00FFFFFF
	s_cmp_lt_u32 s82, s66                                      // 00000000D3A0: BF0A4252
	s_cselect_b32 s20, s36, s60                                // 00000000D3A4: 85143C24
	v_readlane_b32 s82, v3, 5                                  // 00000000D3A8: D2890052 00010B03
	s_and_b32 s82, s82, 0xffffff                               // 00000000D3B0: 8652FF52 00FFFFFF
	s_cmp_lt_u32 s82, s66                                      // 00000000D3B8: BF0A4252
	s_cselect_b32 s21, s36, s60                                // 00000000D3BC: 85153C24
	s_mov_b64 exec, s[20:21]                                   // 00000000D3C0: BEFE0114
	global_atomic_add_f32 v6, v80, s[8:9]                      // 00000000D3C4: DD348000 00085006
	global_atomic_add_f32 v6, v84, s[8:9] offset:256           // 00000000D3CC: DD348100 00085406
	global_atomic_add_f32 v6, v88, s[8:9] offset:512           // 00000000D3D4: DD348200 00085806
	global_atomic_add_f32 v6, v92, s[8:9] offset:768           // 00000000D3DC: DD348300 00085C06
	s_mov_b64 exec, s[36:37]                                   // 00000000D3E4: BEFE0124
	v_mov_b32_e32 v6, v51                                      // 00000000D3E8: 7E0C0333
	s_mov_b64 s[60:61], 0                                      // 00000000D3EC: BEBC0180
	v_readlane_b32 s82, v3, 6                                  // 00000000D3F0: D2890052 00010D03
	s_and_b32 s82, s82, 0xffffff                               // 00000000D3F8: 8652FF52 00FFFFFF
	s_cmp_lt_u32 s82, s66                                      // 00000000D400: BF0A4252
	s_cselect_b32 s20, s36, s60                                // 00000000D404: 85143C24
	v_readlane_b32 s82, v3, 7                                  // 00000000D408: D2890052 00010F03
	s_and_b32 s82, s82, 0xffffff                               // 00000000D410: 8652FF52 00FFFFFF
	s_cmp_lt_u32 s82, s66                                      // 00000000D418: BF0A4252
	s_cselect_b32 s21, s36, s60                                // 00000000D41C: 85153C24
	s_mov_b64 exec, s[20:21]                                   // 00000000D420: BEFE0114
	global_atomic_add_f32 v6, v81, s[8:9]                      // 00000000D424: DD348000 00085106
	global_atomic_add_f32 v6, v85, s[8:9] offset:256           // 00000000D42C: DD348100 00085506
	global_atomic_add_f32 v6, v89, s[8:9] offset:512           // 00000000D434: DD348200 00085906
	global_atomic_add_f32 v6, v93, s[8:9] offset:768           // 00000000D43C: DD348300 00085D06
	s_mov_b64 exec, s[36:37]                                   // 00000000D444: BEFE0124
	v_mov_b32_e32 v6, v52                                      // 00000000D448: 7E0C0334
	s_mov_b64 s[60:61], 0                                      // 00000000D44C: BEBC0180
	v_readlane_b32 s82, v3, 8                                  // 00000000D450: D2890052 00011103
	s_and_b32 s82, s82, 0xffffff                               // 00000000D458: 8652FF52 00FFFFFF
	s_cmp_lt_u32 s82, s66                                      // 00000000D460: BF0A4252
	s_cselect_b32 s20, s36, s60                                // 00000000D464: 85143C24
	v_readlane_b32 s82, v3, 9                                  // 00000000D468: D2890052 00011303
	s_and_b32 s82, s82, 0xffffff                               // 00000000D470: 8652FF52 00FFFFFF
	s_cmp_lt_u32 s82, s66                                      // 00000000D478: BF0A4252
	s_cselect_b32 s21, s36, s60                                // 00000000D47C: 85153C24
	s_mov_b64 exec, s[20:21]                                   // 00000000D480: BEFE0114
	global_atomic_add_f32 v6, v96, s[8:9]                      // 00000000D484: DD348000 00086006
	global_atomic_add_f32 v6, v100, s[8:9] offset:256          // 00000000D48C: DD348100 00086406
	global_atomic_add_f32 v6, v104, s[8:9] offset:512          // 00000000D494: DD348200 00086806
	global_atomic_add_f32 v6, v108, s[8:9] offset:768          // 00000000D49C: DD348300 00086C06
	s_mov_b64 exec, s[36:37]                                   // 00000000D4A4: BEFE0124
	v_mov_b32_e32 v6, v53                                      // 00000000D4A8: 7E0C0335
	s_mov_b64 s[60:61], 0                                      // 00000000D4AC: BEBC0180
	v_readlane_b32 s82, v3, 10                                 // 00000000D4B0: D2890052 00011503
	s_and_b32 s82, s82, 0xffffff                               // 00000000D4B8: 8652FF52 00FFFFFF
	s_cmp_lt_u32 s82, s66                                      // 00000000D4C0: BF0A4252
	s_cselect_b32 s20, s36, s60                                // 00000000D4C4: 85143C24
	v_readlane_b32 s82, v3, 11                                 // 00000000D4C8: D2890052 00011703
	s_and_b32 s82, s82, 0xffffff                               // 00000000D4D0: 8652FF52 00FFFFFF
	s_cmp_lt_u32 s82, s66                                      // 00000000D4D8: BF0A4252
	s_cselect_b32 s21, s36, s60                                // 00000000D4DC: 85153C24
	s_mov_b64 exec, s[20:21]                                   // 00000000D4E0: BEFE0114
	global_atomic_add_f32 v6, v97, s[8:9]                      // 00000000D4E4: DD348000 00086106
	global_atomic_add_f32 v6, v101, s[8:9] offset:256          // 00000000D4EC: DD348100 00086506
	global_atomic_add_f32 v6, v105, s[8:9] offset:512          // 00000000D4F4: DD348200 00086906
	global_atomic_add_f32 v6, v109, s[8:9] offset:768          // 00000000D4FC: DD348300 00086D06
	s_mov_b64 exec, s[36:37]                                   // 00000000D504: BEFE0124
	v_mov_b32_e32 v6, v54                                      // 00000000D508: 7E0C0336
	s_mov_b64 s[60:61], 0                                      // 00000000D50C: BEBC0180
	v_readlane_b32 s82, v3, 12                                 // 00000000D510: D2890052 00011903
	s_and_b32 s82, s82, 0xffffff                               // 00000000D518: 8652FF52 00FFFFFF
	s_cmp_lt_u32 s82, s66                                      // 00000000D520: BF0A4252
	s_cselect_b32 s20, s36, s60                                // 00000000D524: 85143C24
	v_readlane_b32 s82, v3, 13                                 // 00000000D528: D2890052 00011B03
	s_and_b32 s82, s82, 0xffffff                               // 00000000D530: 8652FF52 00FFFFFF
	s_cmp_lt_u32 s82, s66                                      // 00000000D538: BF0A4252
	s_cselect_b32 s21, s36, s60                                // 00000000D53C: 85153C24
	s_mov_b64 exec, s[20:21]                                   // 00000000D540: BEFE0114
	global_atomic_add_f32 v6, v112, s[8:9]                     // 00000000D544: DD348000 00087006
	global_atomic_add_f32 v6, v116, s[8:9] offset:256          // 00000000D54C: DD348100 00087406
	global_atomic_add_f32 v6, v120, s[8:9] offset:512          // 00000000D554: DD348200 00087806
	global_atomic_add_f32 v6, v124, s[8:9] offset:768          // 00000000D55C: DD348300 00087C06
	s_mov_b64 exec, s[36:37]                                   // 00000000D564: BEFE0124
	v_mov_b32_e32 v6, v55                                      // 00000000D568: 7E0C0337
	s_mov_b64 s[60:61], 0                                      // 00000000D56C: BEBC0180
	v_readlane_b32 s82, v3, 14                                 // 00000000D570: D2890052 00011D03
	s_and_b32 s82, s82, 0xffffff                               // 00000000D578: 8652FF52 00FFFFFF
	s_cmp_lt_u32 s82, s66                                      // 00000000D580: BF0A4252
	s_cselect_b32 s20, s36, s60                                // 00000000D584: 85143C24
	v_readlane_b32 s82, v3, 15                                 // 00000000D588: D2890052 00011F03
	s_and_b32 s82, s82, 0xffffff                               // 00000000D590: 8652FF52 00FFFFFF
	s_cmp_lt_u32 s82, s66                                      // 00000000D598: BF0A4252
	s_cselect_b32 s21, s36, s60                                // 00000000D59C: 85153C24
	s_mov_b64 exec, s[20:21]                                   // 00000000D5A0: BEFE0114
	global_atomic_add_f32 v6, v113, s[8:9]                     // 00000000D5A4: DD348000 00087106
	global_atomic_add_f32 v6, v117, s[8:9] offset:256          // 00000000D5AC: DD348100 00087506
	global_atomic_add_f32 v6, v121, s[8:9] offset:512          // 00000000D5B4: DD348200 00087906
	global_atomic_add_f32 v6, v125, s[8:9] offset:768          // 00000000D5BC: DD348300 00087D06
	s_mov_b64 exec, s[36:37]                                   // 00000000D5C4: BEFE0124
	v_mov_b32_e32 v6, v56                                      // 00000000D5C8: 7E0C0338
	s_mov_b64 s[60:61], 0                                      // 00000000D5CC: BEBC0180
	v_readlane_b32 s82, v3, 16                                 // 00000000D5D0: D2890052 00012103
	s_and_b32 s82, s82, 0xffffff                               // 00000000D5D8: 8652FF52 00FFFFFF
	s_cmp_lt_u32 s82, s66                                      // 00000000D5E0: BF0A4252
	s_cselect_b32 s20, s36, s60                                // 00000000D5E4: 85143C24
	v_readlane_b32 s82, v3, 17                                 // 00000000D5E8: D2890052 00012303
	s_and_b32 s82, s82, 0xffffff                               // 00000000D5F0: 8652FF52 00FFFFFF
	s_cmp_lt_u32 s82, s66                                      // 00000000D5F8: BF0A4252
	s_cselect_b32 s21, s36, s60                                // 00000000D5FC: 85153C24
	s_mov_b64 exec, s[20:21]                                   // 00000000D600: BEFE0114
	global_atomic_add_f32 v6, v128, s[8:9]                     // 00000000D604: DD348000 00088006
	global_atomic_add_f32 v6, v132, s[8:9] offset:256          // 00000000D60C: DD348100 00088406
	global_atomic_add_f32 v6, v136, s[8:9] offset:512          // 00000000D614: DD348200 00088806
	global_atomic_add_f32 v6, v140, s[8:9] offset:768          // 00000000D61C: DD348300 00088C06
	s_mov_b64 exec, s[36:37]                                   // 00000000D624: BEFE0124
	v_mov_b32_e32 v6, v57                                      // 00000000D628: 7E0C0339
	s_mov_b64 s[60:61], 0                                      // 00000000D62C: BEBC0180
	v_readlane_b32 s82, v3, 18                                 // 00000000D630: D2890052 00012503
	s_and_b32 s82, s82, 0xffffff                               // 00000000D638: 8652FF52 00FFFFFF
	s_cmp_lt_u32 s82, s66                                      // 00000000D640: BF0A4252
	s_cselect_b32 s20, s36, s60                                // 00000000D644: 85143C24
	v_readlane_b32 s82, v3, 19                                 // 00000000D648: D2890052 00012703
	s_and_b32 s82, s82, 0xffffff                               // 00000000D650: 8652FF52 00FFFFFF
	s_cmp_lt_u32 s82, s66                                      // 00000000D658: BF0A4252
	s_cselect_b32 s21, s36, s60                                // 00000000D65C: 85153C24
	s_mov_b64 exec, s[20:21]                                   // 00000000D660: BEFE0114
	global_atomic_add_f32 v6, v129, s[8:9]                     // 00000000D664: DD348000 00088106
	global_atomic_add_f32 v6, v133, s[8:9] offset:256          // 00000000D66C: DD348100 00088506
	global_atomic_add_f32 v6, v137, s[8:9] offset:512          // 00000000D674: DD348200 00088906
	global_atomic_add_f32 v6, v141, s[8:9] offset:768          // 00000000D67C: DD348300 00088D06
	s_mov_b64 exec, s[36:37]                                   // 00000000D684: BEFE0124
	ds_write_b64 v20, v[66:67]                                 // 00000000D688: D89A0000 00004214
	ds_write_b64 v20, v[70:71] offset:8704                     // 00000000D690: D89A2200 00004614
	ds_write_b64 v20, v[74:75] offset:17408                    // 00000000D698: D89A4400 00004A14
	ds_write_b64 v20, v[78:79] offset:26112                    // 00000000D6A0: D89A6600 00004E14
	ds_write_b64 v20, v[82:83] offset:34816                    // 00000000D6A8: D89A8800 00005214
	ds_write_b64 v20, v[86:87] offset:2176                     // 00000000D6B0: D89A0880 00005614
	ds_write_b64 v20, v[90:91] offset:10880                    // 00000000D6B8: D89A2A80 00005A14
	ds_write_b64 v20, v[94:95] offset:19584                    // 00000000D6C0: D89A4C80 00005E14
	ds_write_b64 v20, v[98:99] offset:28288                    // 00000000D6C8: D89A6E80 00006214
	ds_write_b64 v20, v[102:103] offset:36992                  // 00000000D6D0: D89A9080 00006614
	ds_write_b64 v20, v[106:107] offset:4352                   // 00000000D6D8: D89A1100 00006A14
	ds_write_b64 v20, v[110:111] offset:13056                  // 00000000D6E0: D89A3300 00006E14
	ds_write_b64 v20, v[114:115] offset:21760                  // 00000000D6E8: D89A5500 00007214
	ds_write_b64 v20, v[118:119] offset:30464                  // 00000000D6F0: D89A7700 00007614
	ds_write_b64 v20, v[122:123] offset:39168                  // 00000000D6F8: D89A9900 00007A14
	ds_write_b64 v20, v[126:127] offset:6528                   // 00000000D700: D89A1980 00007E14
	ds_write_b64 v20, v[130:131] offset:15232                  // 00000000D708: D89A3B80 00008214
	ds_write_b64 v20, v[134:135] offset:23936                  // 00000000D710: D89A5D80 00008614
	ds_write_b64 v20, v[138:139] offset:32640                  // 00000000D718: D89A7F80 00008A14
	ds_write_b64 v20, v[142:143] offset:41344                  // 00000000D720: D89AA180 00008E14
	s_waitcnt lgkmcnt(0)                                       // 00000000D728: BF8CC07F
	s_barrier                                                  // 00000000D72C: BF8A0000
	ds_read_b32 v66, v21                                       // 00000000D730: D86C0000 42000015
	ds_read_b32 v67, v21 offset:64                             // 00000000D738: D86C0040 43000015
	ds_read_b32 v70, v21 offset:2176                           // 00000000D740: D86C0880 46000015
	ds_read_b32 v71, v21 offset:2240                           // 00000000D748: D86C08C0 47000015
	ds_read_b32 v74, v21 offset:4352                           // 00000000D750: D86C1100 4A000015
	ds_read_b32 v75, v21 offset:4416                           // 00000000D758: D86C1140 4B000015
	ds_read_b32 v78, v21 offset:6528                           // 00000000D760: D86C1980 4E000015
	ds_read_b32 v79, v21 offset:6592                           // 00000000D768: D86C19C0 4F000015
	ds_read_b32 v82, v21 offset:8704                           // 00000000D770: D86C2200 52000015
	ds_read_b32 v83, v21 offset:8768                           // 00000000D778: D86C2240 53000015
	ds_read_b32 v86, v21 offset:10880                          // 00000000D780: D86C2A80 56000015
	ds_read_b32 v87, v21 offset:10944                          // 00000000D788: D86C2AC0 57000015
	ds_read_b32 v90, v21 offset:13056                          // 00000000D790: D86C3300 5A000015
	ds_read_b32 v91, v21 offset:13120                          // 00000000D798: D86C3340 5B000015
	ds_read_b32 v94, v21 offset:15232                          // 00000000D7A0: D86C3B80 5E000015
	ds_read_b32 v95, v21 offset:15296                          // 00000000D7A8: D86C3BC0 5F000015
	ds_read_b32 v98, v21 offset:17408                          // 00000000D7B0: D86C4400 62000015
	ds_read_b32 v99, v21 offset:17472                          // 00000000D7B8: D86C4440 63000015
	ds_read_b32 v102, v21 offset:19584                         // 00000000D7C0: D86C4C80 66000015
	ds_read_b32 v103, v21 offset:19648                         // 00000000D7C8: D86C4CC0 67000015
	ds_read_b32 v106, v21 offset:21760                         // 00000000D7D0: D86C5500 6A000015
	ds_read_b32 v107, v21 offset:21824                         // 00000000D7D8: D86C5540 6B000015
	ds_read_b32 v110, v21 offset:23936                         // 00000000D7E0: D86C5D80 6E000015
	ds_read_b32 v111, v21 offset:24000                         // 00000000D7E8: D86C5DC0 6F000015
	ds_read_b32 v114, v21 offset:26112                         // 00000000D7F0: D86C6600 72000015
	ds_read_b32 v115, v21 offset:26176                         // 00000000D7F8: D86C6640 73000015
	ds_read_b32 v118, v21 offset:28288                         // 00000000D800: D86C6E80 76000015
	ds_read_b32 v119, v21 offset:28352                         // 00000000D808: D86C6EC0 77000015
	ds_read_b32 v122, v21 offset:30464                         // 00000000D810: D86C7700 7A000015
	ds_read_b32 v123, v21 offset:30528                         // 00000000D818: D86C7740 7B000015
	ds_read_b32 v126, v21 offset:32640                         // 00000000D820: D86C7F80 7E000015
	ds_read_b32 v127, v21 offset:32704                         // 00000000D828: D86C7FC0 7F000015
	ds_read_b32 v130, v21 offset:34816                         // 00000000D830: D86C8800 82000015
	ds_read_b32 v131, v21 offset:34880                         // 00000000D838: D86C8840 83000015
	ds_read_b32 v134, v21 offset:36992                         // 00000000D840: D86C9080 86000015
	ds_read_b32 v135, v21 offset:37056                         // 00000000D848: D86C90C0 87000015
	ds_read_b32 v138, v21 offset:39168                         // 00000000D850: D86C9900 8A000015
	ds_read_b32 v139, v21 offset:39232                         // 00000000D858: D86C9940 8B000015
	ds_read_b32 v142, v21 offset:41344                         // 00000000D860: D86CA180 8E000015
	ds_read_b32 v143, v21 offset:41408                         // 00000000D868: D86CA1C0 8F000015
	s_waitcnt lgkmcnt(0)                                       // 00000000D870: BF8CC07F
	v_mov_b32_e32 v7, 0                                        // 00000000D874: 7E0E0280
	s_mov_b64 exec, s[36:37]                                   // 00000000D878: BEFE0124
	v_mov_b32_e32 v6, v48                                      // 00000000D87C: 7E0C0330
	s_mov_b64 s[60:61], 0                                      // 00000000D880: BEBC0180
	v_readlane_b32 s82, v3, 0                                  // 00000000D884: D2890052 00010103
	s_and_b32 s82, s82, 0xffffff                               // 00000000D88C: 8652FF52 00FFFFFF
	s_cmp_lt_u32 s82, s66                                      // 00000000D894: BF0A4252
	s_cselect_b32 s20, s36, s60                                // 00000000D898: 85143C24
	v_readlane_b32 s82, v3, 1                                  // 00000000D89C: D2890052 00010303
	s_and_b32 s82, s82, 0xffffff                               // 00000000D8A4: 8652FF52 00FFFFFF
	s_cmp_lt_u32 s82, s66                                      // 00000000D8AC: BF0A4252
	s_cselect_b32 s21, s36, s60                                // 00000000D8B0: 85153C24
	s_mov_b64 exec, s[20:21]                                   // 00000000D8B4: BEFE0114
	global_atomic_add_f32 v6, v66, s[8:9] offset:8             // 00000000D8B8: DD348008 00084206
	global_atomic_add_f32 v6, v70, s[8:9] offset:264           // 00000000D8C0: DD348108 00084606
	global_atomic_add_f32 v6, v74, s[8:9] offset:520           // 00000000D8C8: DD348208 00084A06
	global_atomic_add_f32 v6, v78, s[8:9] offset:776           // 00000000D8D0: DD348308 00084E06
	s_mov_b64 exec, s[36:37]                                   // 00000000D8D8: BEFE0124
	v_mov_b32_e32 v6, v49                                      // 00000000D8DC: 7E0C0331
	s_mov_b64 s[60:61], 0                                      // 00000000D8E0: BEBC0180
	v_readlane_b32 s82, v3, 2                                  // 00000000D8E4: D2890052 00010503
	s_and_b32 s82, s82, 0xffffff                               // 00000000D8EC: 8652FF52 00FFFFFF
	s_cmp_lt_u32 s82, s66                                      // 00000000D8F4: BF0A4252
	s_cselect_b32 s20, s36, s60                                // 00000000D8F8: 85143C24
	v_readlane_b32 s82, v3, 3                                  // 00000000D8FC: D2890052 00010703
	s_and_b32 s82, s82, 0xffffff                               // 00000000D904: 8652FF52 00FFFFFF
	s_cmp_lt_u32 s82, s66                                      // 00000000D90C: BF0A4252
	s_cselect_b32 s21, s36, s60                                // 00000000D910: 85153C24
	s_mov_b64 exec, s[20:21]                                   // 00000000D914: BEFE0114
	global_atomic_add_f32 v6, v67, s[8:9] offset:8             // 00000000D918: DD348008 00084306
	global_atomic_add_f32 v6, v71, s[8:9] offset:264           // 00000000D920: DD348108 00084706
	global_atomic_add_f32 v6, v75, s[8:9] offset:520           // 00000000D928: DD348208 00084B06
	global_atomic_add_f32 v6, v79, s[8:9] offset:776           // 00000000D930: DD348308 00084F06
	s_mov_b64 exec, s[36:37]                                   // 00000000D938: BEFE0124
	v_mov_b32_e32 v6, v50                                      // 00000000D93C: 7E0C0332
	s_mov_b64 s[60:61], 0                                      // 00000000D940: BEBC0180
	v_readlane_b32 s82, v3, 4                                  // 00000000D944: D2890052 00010903
	s_and_b32 s82, s82, 0xffffff                               // 00000000D94C: 8652FF52 00FFFFFF
	s_cmp_lt_u32 s82, s66                                      // 00000000D954: BF0A4252
	s_cselect_b32 s20, s36, s60                                // 00000000D958: 85143C24
	v_readlane_b32 s82, v3, 5                                  // 00000000D95C: D2890052 00010B03
	s_and_b32 s82, s82, 0xffffff                               // 00000000D964: 8652FF52 00FFFFFF
	s_cmp_lt_u32 s82, s66                                      // 00000000D96C: BF0A4252
	s_cselect_b32 s21, s36, s60                                // 00000000D970: 85153C24
	s_mov_b64 exec, s[20:21]                                   // 00000000D974: BEFE0114
	global_atomic_add_f32 v6, v82, s[8:9] offset:8             // 00000000D978: DD348008 00085206
	global_atomic_add_f32 v6, v86, s[8:9] offset:264           // 00000000D980: DD348108 00085606
	global_atomic_add_f32 v6, v90, s[8:9] offset:520           // 00000000D988: DD348208 00085A06
	global_atomic_add_f32 v6, v94, s[8:9] offset:776           // 00000000D990: DD348308 00085E06
	s_mov_b64 exec, s[36:37]                                   // 00000000D998: BEFE0124
	v_mov_b32_e32 v6, v51                                      // 00000000D99C: 7E0C0333
	s_mov_b64 s[60:61], 0                                      // 00000000D9A0: BEBC0180
	v_readlane_b32 s82, v3, 6                                  // 00000000D9A4: D2890052 00010D03
	s_and_b32 s82, s82, 0xffffff                               // 00000000D9AC: 8652FF52 00FFFFFF
	s_cmp_lt_u32 s82, s66                                      // 00000000D9B4: BF0A4252
	s_cselect_b32 s20, s36, s60                                // 00000000D9B8: 85143C24
	v_readlane_b32 s82, v3, 7                                  // 00000000D9BC: D2890052 00010F03
	s_and_b32 s82, s82, 0xffffff                               // 00000000D9C4: 8652FF52 00FFFFFF
	s_cmp_lt_u32 s82, s66                                      // 00000000D9CC: BF0A4252
	s_cselect_b32 s21, s36, s60                                // 00000000D9D0: 85153C24
	s_mov_b64 exec, s[20:21]                                   // 00000000D9D4: BEFE0114
	global_atomic_add_f32 v6, v83, s[8:9] offset:8             // 00000000D9D8: DD348008 00085306
	global_atomic_add_f32 v6, v87, s[8:9] offset:264           // 00000000D9E0: DD348108 00085706
	global_atomic_add_f32 v6, v91, s[8:9] offset:520           // 00000000D9E8: DD348208 00085B06
	global_atomic_add_f32 v6, v95, s[8:9] offset:776           // 00000000D9F0: DD348308 00085F06
	s_mov_b64 exec, s[36:37]                                   // 00000000D9F8: BEFE0124
	v_mov_b32_e32 v6, v52                                      // 00000000D9FC: 7E0C0334
	s_mov_b64 s[60:61], 0                                      // 00000000DA00: BEBC0180
	v_readlane_b32 s82, v3, 8                                  // 00000000DA04: D2890052 00011103
	s_and_b32 s82, s82, 0xffffff                               // 00000000DA0C: 8652FF52 00FFFFFF
	s_cmp_lt_u32 s82, s66                                      // 00000000DA14: BF0A4252
	s_cselect_b32 s20, s36, s60                                // 00000000DA18: 85143C24
	v_readlane_b32 s82, v3, 9                                  // 00000000DA1C: D2890052 00011303
	s_and_b32 s82, s82, 0xffffff                               // 00000000DA24: 8652FF52 00FFFFFF
	s_cmp_lt_u32 s82, s66                                      // 00000000DA2C: BF0A4252
	s_cselect_b32 s21, s36, s60                                // 00000000DA30: 85153C24
	s_mov_b64 exec, s[20:21]                                   // 00000000DA34: BEFE0114
	global_atomic_add_f32 v6, v98, s[8:9] offset:8             // 00000000DA38: DD348008 00086206
	global_atomic_add_f32 v6, v102, s[8:9] offset:264          // 00000000DA40: DD348108 00086606
	global_atomic_add_f32 v6, v106, s[8:9] offset:520          // 00000000DA48: DD348208 00086A06
	global_atomic_add_f32 v6, v110, s[8:9] offset:776          // 00000000DA50: DD348308 00086E06
	s_mov_b64 exec, s[36:37]                                   // 00000000DA58: BEFE0124
	v_mov_b32_e32 v6, v53                                      // 00000000DA5C: 7E0C0335
	s_mov_b64 s[60:61], 0                                      // 00000000DA60: BEBC0180
	v_readlane_b32 s82, v3, 10                                 // 00000000DA64: D2890052 00011503
	s_and_b32 s82, s82, 0xffffff                               // 00000000DA6C: 8652FF52 00FFFFFF
	s_cmp_lt_u32 s82, s66                                      // 00000000DA74: BF0A4252
	s_cselect_b32 s20, s36, s60                                // 00000000DA78: 85143C24
	v_readlane_b32 s82, v3, 11                                 // 00000000DA7C: D2890052 00011703
	s_and_b32 s82, s82, 0xffffff                               // 00000000DA84: 8652FF52 00FFFFFF
	s_cmp_lt_u32 s82, s66                                      // 00000000DA8C: BF0A4252
	s_cselect_b32 s21, s36, s60                                // 00000000DA90: 85153C24
	s_mov_b64 exec, s[20:21]                                   // 00000000DA94: BEFE0114
	global_atomic_add_f32 v6, v99, s[8:9] offset:8             // 00000000DA98: DD348008 00086306
	global_atomic_add_f32 v6, v103, s[8:9] offset:264          // 00000000DAA0: DD348108 00086706
	global_atomic_add_f32 v6, v107, s[8:9] offset:520          // 00000000DAA8: DD348208 00086B06
	global_atomic_add_f32 v6, v111, s[8:9] offset:776          // 00000000DAB0: DD348308 00086F06
	s_mov_b64 exec, s[36:37]                                   // 00000000DAB8: BEFE0124
	v_mov_b32_e32 v6, v54                                      // 00000000DABC: 7E0C0336
	s_mov_b64 s[60:61], 0                                      // 00000000DAC0: BEBC0180
	v_readlane_b32 s82, v3, 12                                 // 00000000DAC4: D2890052 00011903
	s_and_b32 s82, s82, 0xffffff                               // 00000000DACC: 8652FF52 00FFFFFF
	s_cmp_lt_u32 s82, s66                                      // 00000000DAD4: BF0A4252
	s_cselect_b32 s20, s36, s60                                // 00000000DAD8: 85143C24
	v_readlane_b32 s82, v3, 13                                 // 00000000DADC: D2890052 00011B03
	s_and_b32 s82, s82, 0xffffff                               // 00000000DAE4: 8652FF52 00FFFFFF
	s_cmp_lt_u32 s82, s66                                      // 00000000DAEC: BF0A4252
	s_cselect_b32 s21, s36, s60                                // 00000000DAF0: 85153C24
	s_mov_b64 exec, s[20:21]                                   // 00000000DAF4: BEFE0114
	global_atomic_add_f32 v6, v114, s[8:9] offset:8            // 00000000DAF8: DD348008 00087206
	global_atomic_add_f32 v6, v118, s[8:9] offset:264          // 00000000DB00: DD348108 00087606
	global_atomic_add_f32 v6, v122, s[8:9] offset:520          // 00000000DB08: DD348208 00087A06
	global_atomic_add_f32 v6, v126, s[8:9] offset:776          // 00000000DB10: DD348308 00087E06
	s_mov_b64 exec, s[36:37]                                   // 00000000DB18: BEFE0124
	v_mov_b32_e32 v6, v55                                      // 00000000DB1C: 7E0C0337
	s_mov_b64 s[60:61], 0                                      // 00000000DB20: BEBC0180
	v_readlane_b32 s82, v3, 14                                 // 00000000DB24: D2890052 00011D03
	s_and_b32 s82, s82, 0xffffff                               // 00000000DB2C: 8652FF52 00FFFFFF
	s_cmp_lt_u32 s82, s66                                      // 00000000DB34: BF0A4252
	s_cselect_b32 s20, s36, s60                                // 00000000DB38: 85143C24
	v_readlane_b32 s82, v3, 15                                 // 00000000DB3C: D2890052 00011F03
	s_and_b32 s82, s82, 0xffffff                               // 00000000DB44: 8652FF52 00FFFFFF
	s_cmp_lt_u32 s82, s66                                      // 00000000DB4C: BF0A4252
	s_cselect_b32 s21, s36, s60                                // 00000000DB50: 85153C24
	s_mov_b64 exec, s[20:21]                                   // 00000000DB54: BEFE0114
	global_atomic_add_f32 v6, v115, s[8:9] offset:8            // 00000000DB58: DD348008 00087306
	global_atomic_add_f32 v6, v119, s[8:9] offset:264          // 00000000DB60: DD348108 00087706
	global_atomic_add_f32 v6, v123, s[8:9] offset:520          // 00000000DB68: DD348208 00087B06
	global_atomic_add_f32 v6, v127, s[8:9] offset:776          // 00000000DB70: DD348308 00087F06
	s_mov_b64 exec, s[36:37]                                   // 00000000DB78: BEFE0124
	v_mov_b32_e32 v6, v56                                      // 00000000DB7C: 7E0C0338
	s_mov_b64 s[60:61], 0                                      // 00000000DB80: BEBC0180
	v_readlane_b32 s82, v3, 16                                 // 00000000DB84: D2890052 00012103
	s_and_b32 s82, s82, 0xffffff                               // 00000000DB8C: 8652FF52 00FFFFFF
	s_cmp_lt_u32 s82, s66                                      // 00000000DB94: BF0A4252
	s_cselect_b32 s20, s36, s60                                // 00000000DB98: 85143C24
	v_readlane_b32 s82, v3, 17                                 // 00000000DB9C: D2890052 00012303
	s_and_b32 s82, s82, 0xffffff                               // 00000000DBA4: 8652FF52 00FFFFFF
	s_cmp_lt_u32 s82, s66                                      // 00000000DBAC: BF0A4252
	s_cselect_b32 s21, s36, s60                                // 00000000DBB0: 85153C24
	s_mov_b64 exec, s[20:21]                                   // 00000000DBB4: BEFE0114
	global_atomic_add_f32 v6, v130, s[8:9] offset:8            // 00000000DBB8: DD348008 00088206
	global_atomic_add_f32 v6, v134, s[8:9] offset:264          // 00000000DBC0: DD348108 00088606
	global_atomic_add_f32 v6, v138, s[8:9] offset:520          // 00000000DBC8: DD348208 00088A06
	global_atomic_add_f32 v6, v142, s[8:9] offset:776          // 00000000DBD0: DD348308 00088E06
	s_mov_b64 exec, s[36:37]                                   // 00000000DBD8: BEFE0124
	v_mov_b32_e32 v6, v57                                      // 00000000DBDC: 7E0C0339
	s_mov_b64 s[60:61], 0                                      // 00000000DBE0: BEBC0180
	v_readlane_b32 s82, v3, 18                                 // 00000000DBE4: D2890052 00012503
	s_and_b32 s82, s82, 0xffffff                               // 00000000DBEC: 8652FF52 00FFFFFF
	s_cmp_lt_u32 s82, s66                                      // 00000000DBF4: BF0A4252
	s_cselect_b32 s20, s36, s60                                // 00000000DBF8: 85143C24
	v_readlane_b32 s82, v3, 19                                 // 00000000DBFC: D2890052 00012703
	s_and_b32 s82, s82, 0xffffff                               // 00000000DC04: 8652FF52 00FFFFFF
	s_cmp_lt_u32 s82, s66                                      // 00000000DC0C: BF0A4252
	s_cselect_b32 s21, s36, s60                                // 00000000DC10: 85153C24
	s_mov_b64 exec, s[20:21]                                   // 00000000DC14: BEFE0114
	global_atomic_add_f32 v6, v131, s[8:9] offset:8            // 00000000DC18: DD348008 00088306
	global_atomic_add_f32 v6, v135, s[8:9] offset:264          // 00000000DC20: DD348108 00088706
	global_atomic_add_f32 v6, v139, s[8:9] offset:520          // 00000000DC28: DD348208 00088B06
	global_atomic_add_f32 v6, v143, s[8:9] offset:776          // 00000000DC30: DD348308 00088F06
	s_mov_b64 exec, s[36:37]                                   // 00000000DC38: BEFE0124
	ds_write_b64 v20, v[144:145]                               // 00000000DC3C: D89A0000 00009014
	ds_write_b64 v20, v[148:149] offset:8704                   // 00000000DC44: D89A2200 00009414
	ds_write_b64 v20, v[152:153] offset:17408                  // 00000000DC4C: D89A4400 00009814
	ds_write_b64 v20, v[156:157] offset:26112                  // 00000000DC54: D89A6600 00009C14
	ds_write_b64 v20, v[160:161] offset:34816                  // 00000000DC5C: D89A8800 0000A014
	ds_write_b64 v20, v[164:165] offset:2176                   // 00000000DC64: D89A0880 0000A414
	ds_write_b64 v20, v[168:169] offset:10880                  // 00000000DC6C: D89A2A80 0000A814
	ds_write_b64 v20, v[172:173] offset:19584                  // 00000000DC74: D89A4C80 0000AC14
	ds_write_b64 v20, v[176:177] offset:28288                  // 00000000DC7C: D89A6E80 0000B014
	ds_write_b64 v20, v[180:181] offset:36992                  // 00000000DC84: D89A9080 0000B414
	ds_write_b64 v20, v[184:185] offset:4352                   // 00000000DC8C: D89A1100 0000B814
	ds_write_b64 v20, v[188:189] offset:13056                  // 00000000DC94: D89A3300 0000BC14
	ds_write_b64 v20, v[192:193] offset:21760                  // 00000000DC9C: D89A5500 0000C014
	ds_write_b64 v20, v[196:197] offset:30464                  // 00000000DCA4: D89A7700 0000C414
	ds_write_b64 v20, v[200:201] offset:39168                  // 00000000DCAC: D89A9900 0000C814
	ds_write_b64 v20, v[204:205] offset:6528                   // 00000000DCB4: D89A1980 0000CC14
	ds_write_b64 v20, v[208:209] offset:15232                  // 00000000DCBC: D89A3B80 0000D014
	ds_write_b64 v20, v[212:213] offset:23936                  // 00000000DCC4: D89A5D80 0000D414
	ds_write_b64 v20, v[216:217] offset:32640                  // 00000000DCCC: D89A7F80 0000D814
	ds_write_b64 v20, v[220:221] offset:41344                  // 00000000DCD4: D89AA180 0000DC14
	s_waitcnt lgkmcnt(0)                                       // 00000000DCDC: BF8CC07F
	s_barrier                                                  // 00000000DCE0: BF8A0000
	ds_read_b32 v144, v21                                      // 00000000DCE4: D86C0000 90000015
	ds_read_b32 v145, v21 offset:64                            // 00000000DCEC: D86C0040 91000015
	ds_read_b32 v148, v21 offset:2176                          // 00000000DCF4: D86C0880 94000015
	ds_read_b32 v149, v21 offset:2240                          // 00000000DCFC: D86C08C0 95000015
	ds_read_b32 v152, v21 offset:4352                          // 00000000DD04: D86C1100 98000015
	ds_read_b32 v153, v21 offset:4416                          // 00000000DD0C: D86C1140 99000015
	ds_read_b32 v156, v21 offset:6528                          // 00000000DD14: D86C1980 9C000015
	ds_read_b32 v157, v21 offset:6592                          // 00000000DD1C: D86C19C0 9D000015
	ds_read_b32 v160, v21 offset:8704                          // 00000000DD24: D86C2200 A0000015
	ds_read_b32 v161, v21 offset:8768                          // 00000000DD2C: D86C2240 A1000015
	ds_read_b32 v164, v21 offset:10880                         // 00000000DD34: D86C2A80 A4000015
	ds_read_b32 v165, v21 offset:10944                         // 00000000DD3C: D86C2AC0 A5000015
	ds_read_b32 v168, v21 offset:13056                         // 00000000DD44: D86C3300 A8000015
	ds_read_b32 v169, v21 offset:13120                         // 00000000DD4C: D86C3340 A9000015
	ds_read_b32 v172, v21 offset:15232                         // 00000000DD54: D86C3B80 AC000015
	ds_read_b32 v173, v21 offset:15296                         // 00000000DD5C: D86C3BC0 AD000015
	ds_read_b32 v176, v21 offset:17408                         // 00000000DD64: D86C4400 B0000015
	ds_read_b32 v177, v21 offset:17472                         // 00000000DD6C: D86C4440 B1000015
	ds_read_b32 v180, v21 offset:19584                         // 00000000DD74: D86C4C80 B4000015
	ds_read_b32 v181, v21 offset:19648                         // 00000000DD7C: D86C4CC0 B5000015
	ds_read_b32 v184, v21 offset:21760                         // 00000000DD84: D86C5500 B8000015
	ds_read_b32 v185, v21 offset:21824                         // 00000000DD8C: D86C5540 B9000015
	ds_read_b32 v188, v21 offset:23936                         // 00000000DD94: D86C5D80 BC000015
	ds_read_b32 v189, v21 offset:24000                         // 00000000DD9C: D86C5DC0 BD000015
	ds_read_b32 v192, v21 offset:26112                         // 00000000DDA4: D86C6600 C0000015
	ds_read_b32 v193, v21 offset:26176                         // 00000000DDAC: D86C6640 C1000015
	ds_read_b32 v196, v21 offset:28288                         // 00000000DDB4: D86C6E80 C4000015
	ds_read_b32 v197, v21 offset:28352                         // 00000000DDBC: D86C6EC0 C5000015
	ds_read_b32 v200, v21 offset:30464                         // 00000000DDC4: D86C7700 C8000015
	ds_read_b32 v201, v21 offset:30528                         // 00000000DDCC: D86C7740 C9000015
	ds_read_b32 v204, v21 offset:32640                         // 00000000DDD4: D86C7F80 CC000015
	ds_read_b32 v205, v21 offset:32704                         // 00000000DDDC: D86C7FC0 CD000015
	ds_read_b32 v208, v21 offset:34816                         // 00000000DDE4: D86C8800 D0000015
	ds_read_b32 v209, v21 offset:34880                         // 00000000DDEC: D86C8840 D1000015
	ds_read_b32 v212, v21 offset:36992                         // 00000000DDF4: D86C9080 D4000015
	ds_read_b32 v213, v21 offset:37056                         // 00000000DDFC: D86C90C0 D5000015
	ds_read_b32 v216, v21 offset:39168                         // 00000000DE04: D86C9900 D8000015
	ds_read_b32 v217, v21 offset:39232                         // 00000000DE0C: D86C9940 D9000015
	ds_read_b32 v220, v21 offset:41344                         // 00000000DE14: D86CA180 DC000015
	ds_read_b32 v221, v21 offset:41408                         // 00000000DE1C: D86CA1C0 DD000015
	s_mul_i32 s60, s65, 4                                      // 00000000DE24: 923C8441
	s_add_u32 s8, s60, s8                                      // 00000000DE28: 8008083C
	s_addc_u32 s9, 0, s9                                       // 00000000DE2C: 82090980
	s_waitcnt lgkmcnt(0)                                       // 00000000DE30: BF8CC07F
	v_mov_b32_e32 v7, 0                                        // 00000000DE34: 7E0E0280
	s_mov_b64 exec, s[36:37]                                   // 00000000DE38: BEFE0124
	v_mov_b32_e32 v6, v48                                      // 00000000DE3C: 7E0C0330
	s_mov_b64 s[60:61], 0                                      // 00000000DE40: BEBC0180
	v_readlane_b32 s82, v3, 0                                  // 00000000DE44: D2890052 00010103
	s_and_b32 s82, s82, 0xffffff                               // 00000000DE4C: 8652FF52 00FFFFFF
	s_cmp_lt_u32 s82, s66                                      // 00000000DE54: BF0A4252
	s_cselect_b32 s20, s36, s60                                // 00000000DE58: 85143C24
	v_readlane_b32 s82, v3, 1                                  // 00000000DE5C: D2890052 00010303
	s_and_b32 s82, s82, 0xffffff                               // 00000000DE64: 8652FF52 00FFFFFF
	s_cmp_lt_u32 s82, s66                                      // 00000000DE6C: BF0A4252
	s_cselect_b32 s21, s36, s60                                // 00000000DE70: 85153C24
	s_mov_b64 exec, s[20:21]                                   // 00000000DE74: BEFE0114
	global_atomic_add_f32 v6, v144, s[8:9]                     // 00000000DE78: DD348000 00089006
	global_atomic_add_f32 v6, v148, s[8:9] offset:256          // 00000000DE80: DD348100 00089406
	global_atomic_add_f32 v6, v152, s[8:9] offset:512          // 00000000DE88: DD348200 00089806
	global_atomic_add_f32 v6, v156, s[8:9] offset:768          // 00000000DE90: DD348300 00089C06
	s_mov_b64 exec, s[36:37]                                   // 00000000DE98: BEFE0124
	v_mov_b32_e32 v6, v49                                      // 00000000DE9C: 7E0C0331
	s_mov_b64 s[60:61], 0                                      // 00000000DEA0: BEBC0180
	v_readlane_b32 s82, v3, 2                                  // 00000000DEA4: D2890052 00010503
	s_and_b32 s82, s82, 0xffffff                               // 00000000DEAC: 8652FF52 00FFFFFF
	s_cmp_lt_u32 s82, s66                                      // 00000000DEB4: BF0A4252
	s_cselect_b32 s20, s36, s60                                // 00000000DEB8: 85143C24
	v_readlane_b32 s82, v3, 3                                  // 00000000DEBC: D2890052 00010703
	s_and_b32 s82, s82, 0xffffff                               // 00000000DEC4: 8652FF52 00FFFFFF
	s_cmp_lt_u32 s82, s66                                      // 00000000DECC: BF0A4252
	s_cselect_b32 s21, s36, s60                                // 00000000DED0: 85153C24
	s_mov_b64 exec, s[20:21]                                   // 00000000DED4: BEFE0114
	global_atomic_add_f32 v6, v145, s[8:9]                     // 00000000DED8: DD348000 00089106
	global_atomic_add_f32 v6, v149, s[8:9] offset:256          // 00000000DEE0: DD348100 00089506
	global_atomic_add_f32 v6, v153, s[8:9] offset:512          // 00000000DEE8: DD348200 00089906
	global_atomic_add_f32 v6, v157, s[8:9] offset:768          // 00000000DEF0: DD348300 00089D06
	s_mov_b64 exec, s[36:37]                                   // 00000000DEF8: BEFE0124
	v_mov_b32_e32 v6, v50                                      // 00000000DEFC: 7E0C0332
	s_mov_b64 s[60:61], 0                                      // 00000000DF00: BEBC0180
	v_readlane_b32 s82, v3, 4                                  // 00000000DF04: D2890052 00010903
	s_and_b32 s82, s82, 0xffffff                               // 00000000DF0C: 8652FF52 00FFFFFF
	s_cmp_lt_u32 s82, s66                                      // 00000000DF14: BF0A4252
	s_cselect_b32 s20, s36, s60                                // 00000000DF18: 85143C24
	v_readlane_b32 s82, v3, 5                                  // 00000000DF1C: D2890052 00010B03
	s_and_b32 s82, s82, 0xffffff                               // 00000000DF24: 8652FF52 00FFFFFF
	s_cmp_lt_u32 s82, s66                                      // 00000000DF2C: BF0A4252
	s_cselect_b32 s21, s36, s60                                // 00000000DF30: 85153C24
	s_mov_b64 exec, s[20:21]                                   // 00000000DF34: BEFE0114
	global_atomic_add_f32 v6, v160, s[8:9]                     // 00000000DF38: DD348000 0008A006
	global_atomic_add_f32 v6, v164, s[8:9] offset:256          // 00000000DF40: DD348100 0008A406
	global_atomic_add_f32 v6, v168, s[8:9] offset:512          // 00000000DF48: DD348200 0008A806
	global_atomic_add_f32 v6, v172, s[8:9] offset:768          // 00000000DF50: DD348300 0008AC06
	s_mov_b64 exec, s[36:37]                                   // 00000000DF58: BEFE0124
	v_mov_b32_e32 v6, v51                                      // 00000000DF5C: 7E0C0333
	s_mov_b64 s[60:61], 0                                      // 00000000DF60: BEBC0180
	v_readlane_b32 s82, v3, 6                                  // 00000000DF64: D2890052 00010D03
	s_and_b32 s82, s82, 0xffffff                               // 00000000DF6C: 8652FF52 00FFFFFF
	s_cmp_lt_u32 s82, s66                                      // 00000000DF74: BF0A4252
	s_cselect_b32 s20, s36, s60                                // 00000000DF78: 85143C24
	v_readlane_b32 s82, v3, 7                                  // 00000000DF7C: D2890052 00010F03
	s_and_b32 s82, s82, 0xffffff                               // 00000000DF84: 8652FF52 00FFFFFF
	s_cmp_lt_u32 s82, s66                                      // 00000000DF8C: BF0A4252
	s_cselect_b32 s21, s36, s60                                // 00000000DF90: 85153C24
	s_mov_b64 exec, s[20:21]                                   // 00000000DF94: BEFE0114
	global_atomic_add_f32 v6, v161, s[8:9]                     // 00000000DF98: DD348000 0008A106
	global_atomic_add_f32 v6, v165, s[8:9] offset:256          // 00000000DFA0: DD348100 0008A506
	global_atomic_add_f32 v6, v169, s[8:9] offset:512          // 00000000DFA8: DD348200 0008A906
	global_atomic_add_f32 v6, v173, s[8:9] offset:768          // 00000000DFB0: DD348300 0008AD06
	s_mov_b64 exec, s[36:37]                                   // 00000000DFB8: BEFE0124
	v_mov_b32_e32 v6, v52                                      // 00000000DFBC: 7E0C0334
	s_mov_b64 s[60:61], 0                                      // 00000000DFC0: BEBC0180
	v_readlane_b32 s82, v3, 8                                  // 00000000DFC4: D2890052 00011103
	s_and_b32 s82, s82, 0xffffff                               // 00000000DFCC: 8652FF52 00FFFFFF
	s_cmp_lt_u32 s82, s66                                      // 00000000DFD4: BF0A4252
	s_cselect_b32 s20, s36, s60                                // 00000000DFD8: 85143C24
	v_readlane_b32 s82, v3, 9                                  // 00000000DFDC: D2890052 00011303
	s_and_b32 s82, s82, 0xffffff                               // 00000000DFE4: 8652FF52 00FFFFFF
	s_cmp_lt_u32 s82, s66                                      // 00000000DFEC: BF0A4252
	s_cselect_b32 s21, s36, s60                                // 00000000DFF0: 85153C24
	s_mov_b64 exec, s[20:21]                                   // 00000000DFF4: BEFE0114
	global_atomic_add_f32 v6, v176, s[8:9]                     // 00000000DFF8: DD348000 0008B006
	global_atomic_add_f32 v6, v180, s[8:9] offset:256          // 00000000E000: DD348100 0008B406
	global_atomic_add_f32 v6, v184, s[8:9] offset:512          // 00000000E008: DD348200 0008B806
	global_atomic_add_f32 v6, v188, s[8:9] offset:768          // 00000000E010: DD348300 0008BC06
	s_mov_b64 exec, s[36:37]                                   // 00000000E018: BEFE0124
	v_mov_b32_e32 v6, v53                                      // 00000000E01C: 7E0C0335
	s_mov_b64 s[60:61], 0                                      // 00000000E020: BEBC0180
	v_readlane_b32 s82, v3, 10                                 // 00000000E024: D2890052 00011503
	s_and_b32 s82, s82, 0xffffff                               // 00000000E02C: 8652FF52 00FFFFFF
	s_cmp_lt_u32 s82, s66                                      // 00000000E034: BF0A4252
	s_cselect_b32 s20, s36, s60                                // 00000000E038: 85143C24
	v_readlane_b32 s82, v3, 11                                 // 00000000E03C: D2890052 00011703
	s_and_b32 s82, s82, 0xffffff                               // 00000000E044: 8652FF52 00FFFFFF
	s_cmp_lt_u32 s82, s66                                      // 00000000E04C: BF0A4252
	s_cselect_b32 s21, s36, s60                                // 00000000E050: 85153C24
	s_mov_b64 exec, s[20:21]                                   // 00000000E054: BEFE0114
	global_atomic_add_f32 v6, v177, s[8:9]                     // 00000000E058: DD348000 0008B106
	global_atomic_add_f32 v6, v181, s[8:9] offset:256          // 00000000E060: DD348100 0008B506
	global_atomic_add_f32 v6, v185, s[8:9] offset:512          // 00000000E068: DD348200 0008B906
	global_atomic_add_f32 v6, v189, s[8:9] offset:768          // 00000000E070: DD348300 0008BD06
	s_mov_b64 exec, s[36:37]                                   // 00000000E078: BEFE0124
	v_mov_b32_e32 v6, v54                                      // 00000000E07C: 7E0C0336
	s_mov_b64 s[60:61], 0                                      // 00000000E080: BEBC0180
	v_readlane_b32 s82, v3, 12                                 // 00000000E084: D2890052 00011903
	s_and_b32 s82, s82, 0xffffff                               // 00000000E08C: 8652FF52 00FFFFFF
	s_cmp_lt_u32 s82, s66                                      // 00000000E094: BF0A4252
	s_cselect_b32 s20, s36, s60                                // 00000000E098: 85143C24
	v_readlane_b32 s82, v3, 13                                 // 00000000E09C: D2890052 00011B03
	s_and_b32 s82, s82, 0xffffff                               // 00000000E0A4: 8652FF52 00FFFFFF
	s_cmp_lt_u32 s82, s66                                      // 00000000E0AC: BF0A4252
	s_cselect_b32 s21, s36, s60                                // 00000000E0B0: 85153C24
	s_mov_b64 exec, s[20:21]                                   // 00000000E0B4: BEFE0114
	global_atomic_add_f32 v6, v192, s[8:9]                     // 00000000E0B8: DD348000 0008C006
	global_atomic_add_f32 v6, v196, s[8:9] offset:256          // 00000000E0C0: DD348100 0008C406
	global_atomic_add_f32 v6, v200, s[8:9] offset:512          // 00000000E0C8: DD348200 0008C806
	global_atomic_add_f32 v6, v204, s[8:9] offset:768          // 00000000E0D0: DD348300 0008CC06
	s_mov_b64 exec, s[36:37]                                   // 00000000E0D8: BEFE0124
	v_mov_b32_e32 v6, v55                                      // 00000000E0DC: 7E0C0337
	s_mov_b64 s[60:61], 0                                      // 00000000E0E0: BEBC0180
	v_readlane_b32 s82, v3, 14                                 // 00000000E0E4: D2890052 00011D03
	s_and_b32 s82, s82, 0xffffff                               // 00000000E0EC: 8652FF52 00FFFFFF
	s_cmp_lt_u32 s82, s66                                      // 00000000E0F4: BF0A4252
	s_cselect_b32 s20, s36, s60                                // 00000000E0F8: 85143C24
	v_readlane_b32 s82, v3, 15                                 // 00000000E0FC: D2890052 00011F03
	s_and_b32 s82, s82, 0xffffff                               // 00000000E104: 8652FF52 00FFFFFF
	s_cmp_lt_u32 s82, s66                                      // 00000000E10C: BF0A4252
	s_cselect_b32 s21, s36, s60                                // 00000000E110: 85153C24
	s_mov_b64 exec, s[20:21]                                   // 00000000E114: BEFE0114
	global_atomic_add_f32 v6, v193, s[8:9]                     // 00000000E118: DD348000 0008C106
	global_atomic_add_f32 v6, v197, s[8:9] offset:256          // 00000000E120: DD348100 0008C506
	global_atomic_add_f32 v6, v201, s[8:9] offset:512          // 00000000E128: DD348200 0008C906
	global_atomic_add_f32 v6, v205, s[8:9] offset:768          // 00000000E130: DD348300 0008CD06
	s_mov_b64 exec, s[36:37]                                   // 00000000E138: BEFE0124
	v_mov_b32_e32 v6, v56                                      // 00000000E13C: 7E0C0338
	s_mov_b64 s[60:61], 0                                      // 00000000E140: BEBC0180
	v_readlane_b32 s82, v3, 16                                 // 00000000E144: D2890052 00012103
	s_and_b32 s82, s82, 0xffffff                               // 00000000E14C: 8652FF52 00FFFFFF
	s_cmp_lt_u32 s82, s66                                      // 00000000E154: BF0A4252
	s_cselect_b32 s20, s36, s60                                // 00000000E158: 85143C24
	v_readlane_b32 s82, v3, 17                                 // 00000000E15C: D2890052 00012303
	s_and_b32 s82, s82, 0xffffff                               // 00000000E164: 8652FF52 00FFFFFF
	s_cmp_lt_u32 s82, s66                                      // 00000000E16C: BF0A4252
	s_cselect_b32 s21, s36, s60                                // 00000000E170: 85153C24
	s_mov_b64 exec, s[20:21]                                   // 00000000E174: BEFE0114
	global_atomic_add_f32 v6, v208, s[8:9]                     // 00000000E178: DD348000 0008D006
	global_atomic_add_f32 v6, v212, s[8:9] offset:256          // 00000000E180: DD348100 0008D406
	global_atomic_add_f32 v6, v216, s[8:9] offset:512          // 00000000E188: DD348200 0008D806
	global_atomic_add_f32 v6, v220, s[8:9] offset:768          // 00000000E190: DD348300 0008DC06
	s_mov_b64 exec, s[36:37]                                   // 00000000E198: BEFE0124
	v_mov_b32_e32 v6, v57                                      // 00000000E19C: 7E0C0339
	s_mov_b64 s[60:61], 0                                      // 00000000E1A0: BEBC0180
	v_readlane_b32 s82, v3, 18                                 // 00000000E1A4: D2890052 00012503
	s_and_b32 s82, s82, 0xffffff                               // 00000000E1AC: 8652FF52 00FFFFFF
	s_cmp_lt_u32 s82, s66                                      // 00000000E1B4: BF0A4252
	s_cselect_b32 s20, s36, s60                                // 00000000E1B8: 85143C24
	v_readlane_b32 s82, v3, 19                                 // 00000000E1BC: D2890052 00012703
	s_and_b32 s82, s82, 0xffffff                               // 00000000E1C4: 8652FF52 00FFFFFF
	s_cmp_lt_u32 s82, s66                                      // 00000000E1CC: BF0A4252
	s_cselect_b32 s21, s36, s60                                // 00000000E1D0: 85153C24
	s_mov_b64 exec, s[20:21]                                   // 00000000E1D4: BEFE0114
	global_atomic_add_f32 v6, v209, s[8:9]                     // 00000000E1D8: DD348000 0008D106
	global_atomic_add_f32 v6, v213, s[8:9] offset:256          // 00000000E1E0: DD348100 0008D506
	global_atomic_add_f32 v6, v217, s[8:9] offset:512          // 00000000E1E8: DD348200 0008D906
	global_atomic_add_f32 v6, v221, s[8:9] offset:768          // 00000000E1F0: DD348300 0008DD06
	s_mov_b64 exec, s[36:37]                                   // 00000000E1F8: BEFE0124
	ds_write_b64 v20, v[146:147]                               // 00000000E1FC: D89A0000 00009214
	ds_write_b64 v20, v[150:151] offset:8704                   // 00000000E204: D89A2200 00009614
	ds_write_b64 v20, v[154:155] offset:17408                  // 00000000E20C: D89A4400 00009A14
	ds_write_b64 v20, v[158:159] offset:26112                  // 00000000E214: D89A6600 00009E14
	ds_write_b64 v20, v[162:163] offset:34816                  // 00000000E21C: D89A8800 0000A214
	ds_write_b64 v20, v[166:167] offset:2176                   // 00000000E224: D89A0880 0000A614
	ds_write_b64 v20, v[170:171] offset:10880                  // 00000000E22C: D89A2A80 0000AA14
	ds_write_b64 v20, v[174:175] offset:19584                  // 00000000E234: D89A4C80 0000AE14
	ds_write_b64 v20, v[178:179] offset:28288                  // 00000000E23C: D89A6E80 0000B214
	ds_write_b64 v20, v[182:183] offset:36992                  // 00000000E244: D89A9080 0000B614
	ds_write_b64 v20, v[186:187] offset:4352                   // 00000000E24C: D89A1100 0000BA14
	ds_write_b64 v20, v[190:191] offset:13056                  // 00000000E254: D89A3300 0000BE14
	ds_write_b64 v20, v[194:195] offset:21760                  // 00000000E25C: D89A5500 0000C214
	ds_write_b64 v20, v[198:199] offset:30464                  // 00000000E264: D89A7700 0000C614
	ds_write_b64 v20, v[202:203] offset:39168                  // 00000000E26C: D89A9900 0000CA14
	ds_write_b64 v20, v[206:207] offset:6528                   // 00000000E274: D89A1980 0000CE14
	ds_write_b64 v20, v[210:211] offset:15232                  // 00000000E27C: D89A3B80 0000D214
	ds_write_b64 v20, v[214:215] offset:23936                  // 00000000E284: D89A5D80 0000D614
	ds_write_b64 v20, v[218:219] offset:32640                  // 00000000E28C: D89A7F80 0000DA14
	ds_write_b64 v20, v[222:223] offset:41344                  // 00000000E294: D89AA180 0000DE14
	s_waitcnt lgkmcnt(0)                                       // 00000000E29C: BF8CC07F
	s_barrier                                                  // 00000000E2A0: BF8A0000
	ds_read_b32 v146, v21                                      // 00000000E2A4: D86C0000 92000015
	ds_read_b32 v147, v21 offset:64                            // 00000000E2AC: D86C0040 93000015
	ds_read_b32 v150, v21 offset:2176                          // 00000000E2B4: D86C0880 96000015
	ds_read_b32 v151, v21 offset:2240                          // 00000000E2BC: D86C08C0 97000015
	ds_read_b32 v154, v21 offset:4352                          // 00000000E2C4: D86C1100 9A000015
	ds_read_b32 v155, v21 offset:4416                          // 00000000E2CC: D86C1140 9B000015
	ds_read_b32 v158, v21 offset:6528                          // 00000000E2D4: D86C1980 9E000015
	ds_read_b32 v159, v21 offset:6592                          // 00000000E2DC: D86C19C0 9F000015
	ds_read_b32 v162, v21 offset:8704                          // 00000000E2E4: D86C2200 A2000015
	ds_read_b32 v163, v21 offset:8768                          // 00000000E2EC: D86C2240 A3000015
	ds_read_b32 v166, v21 offset:10880                         // 00000000E2F4: D86C2A80 A6000015
	ds_read_b32 v167, v21 offset:10944                         // 00000000E2FC: D86C2AC0 A7000015
	ds_read_b32 v170, v21 offset:13056                         // 00000000E304: D86C3300 AA000015
	ds_read_b32 v171, v21 offset:13120                         // 00000000E30C: D86C3340 AB000015
	ds_read_b32 v174, v21 offset:15232                         // 00000000E314: D86C3B80 AE000015
	ds_read_b32 v175, v21 offset:15296                         // 00000000E31C: D86C3BC0 AF000015
	ds_read_b32 v178, v21 offset:17408                         // 00000000E324: D86C4400 B2000015
	ds_read_b32 v179, v21 offset:17472                         // 00000000E32C: D86C4440 B3000015
	ds_read_b32 v182, v21 offset:19584                         // 00000000E334: D86C4C80 B6000015
	ds_read_b32 v183, v21 offset:19648                         // 00000000E33C: D86C4CC0 B7000015
	ds_read_b32 v186, v21 offset:21760                         // 00000000E344: D86C5500 BA000015
	ds_read_b32 v187, v21 offset:21824                         // 00000000E34C: D86C5540 BB000015
	ds_read_b32 v190, v21 offset:23936                         // 00000000E354: D86C5D80 BE000015
	ds_read_b32 v191, v21 offset:24000                         // 00000000E35C: D86C5DC0 BF000015
	ds_read_b32 v194, v21 offset:26112                         // 00000000E364: D86C6600 C2000015
	ds_read_b32 v195, v21 offset:26176                         // 00000000E36C: D86C6640 C3000015
	ds_read_b32 v198, v21 offset:28288                         // 00000000E374: D86C6E80 C6000015
	ds_read_b32 v199, v21 offset:28352                         // 00000000E37C: D86C6EC0 C7000015
	ds_read_b32 v202, v21 offset:30464                         // 00000000E384: D86C7700 CA000015
	ds_read_b32 v203, v21 offset:30528                         // 00000000E38C: D86C7740 CB000015
	ds_read_b32 v206, v21 offset:32640                         // 00000000E394: D86C7F80 CE000015
	ds_read_b32 v207, v21 offset:32704                         // 00000000E39C: D86C7FC0 CF000015
	ds_read_b32 v210, v21 offset:34816                         // 00000000E3A4: D86C8800 D2000015
	ds_read_b32 v211, v21 offset:34880                         // 00000000E3AC: D86C8840 D3000015
	ds_read_b32 v214, v21 offset:36992                         // 00000000E3B4: D86C9080 D6000015
	ds_read_b32 v215, v21 offset:37056                         // 00000000E3BC: D86C90C0 D7000015
	ds_read_b32 v218, v21 offset:39168                         // 00000000E3C4: D86C9900 DA000015
	ds_read_b32 v219, v21 offset:39232                         // 00000000E3CC: D86C9940 DB000015
	ds_read_b32 v222, v21 offset:41344                         // 00000000E3D4: D86CA180 DE000015
	ds_read_b32 v223, v21 offset:41408                         // 00000000E3DC: D86CA1C0 DF000015
	s_waitcnt lgkmcnt(0)                                       // 00000000E3E4: BF8CC07F
	v_mov_b32_e32 v7, 0                                        // 00000000E3E8: 7E0E0280
	s_mov_b64 exec, s[36:37]                                   // 00000000E3EC: BEFE0124
	v_mov_b32_e32 v6, v48                                      // 00000000E3F0: 7E0C0330
	s_mov_b64 s[60:61], 0                                      // 00000000E3F4: BEBC0180
	v_readlane_b32 s82, v3, 0                                  // 00000000E3F8: D2890052 00010103
	s_and_b32 s82, s82, 0xffffff                               // 00000000E400: 8652FF52 00FFFFFF
	s_cmp_lt_u32 s82, s66                                      // 00000000E408: BF0A4252
	s_cselect_b32 s20, s36, s60                                // 00000000E40C: 85143C24
	v_readlane_b32 s82, v3, 1                                  // 00000000E410: D2890052 00010303
	s_and_b32 s82, s82, 0xffffff                               // 00000000E418: 8652FF52 00FFFFFF
	s_cmp_lt_u32 s82, s66                                      // 00000000E420: BF0A4252
	s_cselect_b32 s21, s36, s60                                // 00000000E424: 85153C24
	s_mov_b64 exec, s[20:21]                                   // 00000000E428: BEFE0114
	global_atomic_add_f32 v6, v146, s[8:9] offset:8            // 00000000E42C: DD348008 00089206
	global_atomic_add_f32 v6, v150, s[8:9] offset:264          // 00000000E434: DD348108 00089606
	global_atomic_add_f32 v6, v154, s[8:9] offset:520          // 00000000E43C: DD348208 00089A06
	global_atomic_add_f32 v6, v158, s[8:9] offset:776          // 00000000E444: DD348308 00089E06
	s_mov_b64 exec, s[36:37]                                   // 00000000E44C: BEFE0124
	v_mov_b32_e32 v6, v49                                      // 00000000E450: 7E0C0331
	s_mov_b64 s[60:61], 0                                      // 00000000E454: BEBC0180
	v_readlane_b32 s82, v3, 2                                  // 00000000E458: D2890052 00010503
	s_and_b32 s82, s82, 0xffffff                               // 00000000E460: 8652FF52 00FFFFFF
	s_cmp_lt_u32 s82, s66                                      // 00000000E468: BF0A4252
	s_cselect_b32 s20, s36, s60                                // 00000000E46C: 85143C24
	v_readlane_b32 s82, v3, 3                                  // 00000000E470: D2890052 00010703
	s_and_b32 s82, s82, 0xffffff                               // 00000000E478: 8652FF52 00FFFFFF
	s_cmp_lt_u32 s82, s66                                      // 00000000E480: BF0A4252
	s_cselect_b32 s21, s36, s60                                // 00000000E484: 85153C24
	s_mov_b64 exec, s[20:21]                                   // 00000000E488: BEFE0114
	global_atomic_add_f32 v6, v147, s[8:9] offset:8            // 00000000E48C: DD348008 00089306
	global_atomic_add_f32 v6, v151, s[8:9] offset:264          // 00000000E494: DD348108 00089706
	global_atomic_add_f32 v6, v155, s[8:9] offset:520          // 00000000E49C: DD348208 00089B06
	global_atomic_add_f32 v6, v159, s[8:9] offset:776          // 00000000E4A4: DD348308 00089F06
	s_mov_b64 exec, s[36:37]                                   // 00000000E4AC: BEFE0124
	v_mov_b32_e32 v6, v50                                      // 00000000E4B0: 7E0C0332
	s_mov_b64 s[60:61], 0                                      // 00000000E4B4: BEBC0180
	v_readlane_b32 s82, v3, 4                                  // 00000000E4B8: D2890052 00010903
	s_and_b32 s82, s82, 0xffffff                               // 00000000E4C0: 8652FF52 00FFFFFF
	s_cmp_lt_u32 s82, s66                                      // 00000000E4C8: BF0A4252
	s_cselect_b32 s20, s36, s60                                // 00000000E4CC: 85143C24
	v_readlane_b32 s82, v3, 5                                  // 00000000E4D0: D2890052 00010B03
	s_and_b32 s82, s82, 0xffffff                               // 00000000E4D8: 8652FF52 00FFFFFF
	s_cmp_lt_u32 s82, s66                                      // 00000000E4E0: BF0A4252
	s_cselect_b32 s21, s36, s60                                // 00000000E4E4: 85153C24
	s_mov_b64 exec, s[20:21]                                   // 00000000E4E8: BEFE0114
	global_atomic_add_f32 v6, v162, s[8:9] offset:8            // 00000000E4EC: DD348008 0008A206
	global_atomic_add_f32 v6, v166, s[8:9] offset:264          // 00000000E4F4: DD348108 0008A606
	global_atomic_add_f32 v6, v170, s[8:9] offset:520          // 00000000E4FC: DD348208 0008AA06
	global_atomic_add_f32 v6, v174, s[8:9] offset:776          // 00000000E504: DD348308 0008AE06
	s_mov_b64 exec, s[36:37]                                   // 00000000E50C: BEFE0124
	v_mov_b32_e32 v6, v51                                      // 00000000E510: 7E0C0333
	s_mov_b64 s[60:61], 0                                      // 00000000E514: BEBC0180
	v_readlane_b32 s82, v3, 6                                  // 00000000E518: D2890052 00010D03
	s_and_b32 s82, s82, 0xffffff                               // 00000000E520: 8652FF52 00FFFFFF
	s_cmp_lt_u32 s82, s66                                      // 00000000E528: BF0A4252
	s_cselect_b32 s20, s36, s60                                // 00000000E52C: 85143C24
	v_readlane_b32 s82, v3, 7                                  // 00000000E530: D2890052 00010F03
	s_and_b32 s82, s82, 0xffffff                               // 00000000E538: 8652FF52 00FFFFFF
	s_cmp_lt_u32 s82, s66                                      // 00000000E540: BF0A4252
	s_cselect_b32 s21, s36, s60                                // 00000000E544: 85153C24
	s_mov_b64 exec, s[20:21]                                   // 00000000E548: BEFE0114
	global_atomic_add_f32 v6, v163, s[8:9] offset:8            // 00000000E54C: DD348008 0008A306
	global_atomic_add_f32 v6, v167, s[8:9] offset:264          // 00000000E554: DD348108 0008A706
	global_atomic_add_f32 v6, v171, s[8:9] offset:520          // 00000000E55C: DD348208 0008AB06
	global_atomic_add_f32 v6, v175, s[8:9] offset:776          // 00000000E564: DD348308 0008AF06
	s_mov_b64 exec, s[36:37]                                   // 00000000E56C: BEFE0124
	v_mov_b32_e32 v6, v52                                      // 00000000E570: 7E0C0334
	s_mov_b64 s[60:61], 0                                      // 00000000E574: BEBC0180
	v_readlane_b32 s82, v3, 8                                  // 00000000E578: D2890052 00011103
	s_and_b32 s82, s82, 0xffffff                               // 00000000E580: 8652FF52 00FFFFFF
	s_cmp_lt_u32 s82, s66                                      // 00000000E588: BF0A4252
	s_cselect_b32 s20, s36, s60                                // 00000000E58C: 85143C24
	v_readlane_b32 s82, v3, 9                                  // 00000000E590: D2890052 00011303
	s_and_b32 s82, s82, 0xffffff                               // 00000000E598: 8652FF52 00FFFFFF
	s_cmp_lt_u32 s82, s66                                      // 00000000E5A0: BF0A4252
	s_cselect_b32 s21, s36, s60                                // 00000000E5A4: 85153C24
	s_mov_b64 exec, s[20:21]                                   // 00000000E5A8: BEFE0114
	global_atomic_add_f32 v6, v178, s[8:9] offset:8            // 00000000E5AC: DD348008 0008B206
	global_atomic_add_f32 v6, v182, s[8:9] offset:264          // 00000000E5B4: DD348108 0008B606
	global_atomic_add_f32 v6, v186, s[8:9] offset:520          // 00000000E5BC: DD348208 0008BA06
	global_atomic_add_f32 v6, v190, s[8:9] offset:776          // 00000000E5C4: DD348308 0008BE06
	s_mov_b64 exec, s[36:37]                                   // 00000000E5CC: BEFE0124
	v_mov_b32_e32 v6, v53                                      // 00000000E5D0: 7E0C0335
	s_mov_b64 s[60:61], 0                                      // 00000000E5D4: BEBC0180
	v_readlane_b32 s82, v3, 10                                 // 00000000E5D8: D2890052 00011503
	s_and_b32 s82, s82, 0xffffff                               // 00000000E5E0: 8652FF52 00FFFFFF
	s_cmp_lt_u32 s82, s66                                      // 00000000E5E8: BF0A4252
	s_cselect_b32 s20, s36, s60                                // 00000000E5EC: 85143C24
	v_readlane_b32 s82, v3, 11                                 // 00000000E5F0: D2890052 00011703
	s_and_b32 s82, s82, 0xffffff                               // 00000000E5F8: 8652FF52 00FFFFFF
	s_cmp_lt_u32 s82, s66                                      // 00000000E600: BF0A4252
	s_cselect_b32 s21, s36, s60                                // 00000000E604: 85153C24
	s_mov_b64 exec, s[20:21]                                   // 00000000E608: BEFE0114
	global_atomic_add_f32 v6, v179, s[8:9] offset:8            // 00000000E60C: DD348008 0008B306
	global_atomic_add_f32 v6, v183, s[8:9] offset:264          // 00000000E614: DD348108 0008B706
	global_atomic_add_f32 v6, v187, s[8:9] offset:520          // 00000000E61C: DD348208 0008BB06
	global_atomic_add_f32 v6, v191, s[8:9] offset:776          // 00000000E624: DD348308 0008BF06
	s_mov_b64 exec, s[36:37]                                   // 00000000E62C: BEFE0124
	v_mov_b32_e32 v6, v54                                      // 00000000E630: 7E0C0336
	s_mov_b64 s[60:61], 0                                      // 00000000E634: BEBC0180
	v_readlane_b32 s82, v3, 12                                 // 00000000E638: D2890052 00011903
	s_and_b32 s82, s82, 0xffffff                               // 00000000E640: 8652FF52 00FFFFFF
	s_cmp_lt_u32 s82, s66                                      // 00000000E648: BF0A4252
	s_cselect_b32 s20, s36, s60                                // 00000000E64C: 85143C24
	v_readlane_b32 s82, v3, 13                                 // 00000000E650: D2890052 00011B03
	s_and_b32 s82, s82, 0xffffff                               // 00000000E658: 8652FF52 00FFFFFF
	s_cmp_lt_u32 s82, s66                                      // 00000000E660: BF0A4252
	s_cselect_b32 s21, s36, s60                                // 00000000E664: 85153C24
	s_mov_b64 exec, s[20:21]                                   // 00000000E668: BEFE0114
	global_atomic_add_f32 v6, v194, s[8:9] offset:8            // 00000000E66C: DD348008 0008C206
	global_atomic_add_f32 v6, v198, s[8:9] offset:264          // 00000000E674: DD348108 0008C606
	global_atomic_add_f32 v6, v202, s[8:9] offset:520          // 00000000E67C: DD348208 0008CA06
	global_atomic_add_f32 v6, v206, s[8:9] offset:776          // 00000000E684: DD348308 0008CE06
	s_mov_b64 exec, s[36:37]                                   // 00000000E68C: BEFE0124
	v_mov_b32_e32 v6, v55                                      // 00000000E690: 7E0C0337
	s_mov_b64 s[60:61], 0                                      // 00000000E694: BEBC0180
	v_readlane_b32 s82, v3, 14                                 // 00000000E698: D2890052 00011D03
	s_and_b32 s82, s82, 0xffffff                               // 00000000E6A0: 8652FF52 00FFFFFF
	s_cmp_lt_u32 s82, s66                                      // 00000000E6A8: BF0A4252
	s_cselect_b32 s20, s36, s60                                // 00000000E6AC: 85143C24
	v_readlane_b32 s82, v3, 15                                 // 00000000E6B0: D2890052 00011F03
	s_and_b32 s82, s82, 0xffffff                               // 00000000E6B8: 8652FF52 00FFFFFF
	s_cmp_lt_u32 s82, s66                                      // 00000000E6C0: BF0A4252
	s_cselect_b32 s21, s36, s60                                // 00000000E6C4: 85153C24
	s_mov_b64 exec, s[20:21]                                   // 00000000E6C8: BEFE0114
	global_atomic_add_f32 v6, v195, s[8:9] offset:8            // 00000000E6CC: DD348008 0008C306
	global_atomic_add_f32 v6, v199, s[8:9] offset:264          // 00000000E6D4: DD348108 0008C706
	global_atomic_add_f32 v6, v203, s[8:9] offset:520          // 00000000E6DC: DD348208 0008CB06
	global_atomic_add_f32 v6, v207, s[8:9] offset:776          // 00000000E6E4: DD348308 0008CF06
	s_mov_b64 exec, s[36:37]                                   // 00000000E6EC: BEFE0124
	v_mov_b32_e32 v6, v56                                      // 00000000E6F0: 7E0C0338
	s_mov_b64 s[60:61], 0                                      // 00000000E6F4: BEBC0180
	v_readlane_b32 s82, v3, 16                                 // 00000000E6F8: D2890052 00012103
	s_and_b32 s82, s82, 0xffffff                               // 00000000E700: 8652FF52 00FFFFFF
	s_cmp_lt_u32 s82, s66                                      // 00000000E708: BF0A4252
	s_cselect_b32 s20, s36, s60                                // 00000000E70C: 85143C24
	v_readlane_b32 s82, v3, 17                                 // 00000000E710: D2890052 00012303
	s_and_b32 s82, s82, 0xffffff                               // 00000000E718: 8652FF52 00FFFFFF
	s_cmp_lt_u32 s82, s66                                      // 00000000E720: BF0A4252
	s_cselect_b32 s21, s36, s60                                // 00000000E724: 85153C24
	s_mov_b64 exec, s[20:21]                                   // 00000000E728: BEFE0114
	global_atomic_add_f32 v6, v210, s[8:9] offset:8            // 00000000E72C: DD348008 0008D206
	global_atomic_add_f32 v6, v214, s[8:9] offset:264          // 00000000E734: DD348108 0008D606
	global_atomic_add_f32 v6, v218, s[8:9] offset:520          // 00000000E73C: DD348208 0008DA06
	global_atomic_add_f32 v6, v222, s[8:9] offset:776          // 00000000E744: DD348308 0008DE06
	s_mov_b64 exec, s[36:37]                                   // 00000000E74C: BEFE0124
	v_mov_b32_e32 v6, v57                                      // 00000000E750: 7E0C0339
	s_mov_b64 s[60:61], 0                                      // 00000000E754: BEBC0180
	v_readlane_b32 s82, v3, 18                                 // 00000000E758: D2890052 00012503
	s_and_b32 s82, s82, 0xffffff                               // 00000000E760: 8652FF52 00FFFFFF
	s_cmp_lt_u32 s82, s66                                      // 00000000E768: BF0A4252
	s_cselect_b32 s20, s36, s60                                // 00000000E76C: 85143C24
	v_readlane_b32 s82, v3, 19                                 // 00000000E770: D2890052 00012703
	s_and_b32 s82, s82, 0xffffff                               // 00000000E778: 8652FF52 00FFFFFF
	s_cmp_lt_u32 s82, s66                                      // 00000000E780: BF0A4252
	s_cselect_b32 s21, s36, s60                                // 00000000E784: 85153C24
	s_mov_b64 exec, s[20:21]                                   // 00000000E788: BEFE0114
	global_atomic_add_f32 v6, v211, s[8:9] offset:8            // 00000000E78C: DD348008 0008D306
	global_atomic_add_f32 v6, v215, s[8:9] offset:264          // 00000000E794: DD348108 0008D706
	global_atomic_add_f32 v6, v219, s[8:9] offset:520          // 00000000E79C: DD348208 0008DB06
	global_atomic_add_f32 v6, v223, s[8:9] offset:776          // 00000000E7A4: DD348308 0008DF06
	s_mov_b64 exec, s[36:37]                                   // 00000000E7AC: BEFE0124
	s_branch label_2F70                                        // 00000000E7B0: BF820000

000000000000e7b4 <label_2F70>:
	s_waitcnt vmcnt(0) expcnt(0) lgkmcnt(0)                    // 00000000E7B4: BF8C0000
	s_endpgm                                                   // 00000000E7B8: BF810000
